;; amdgpu-corpus repo=ROCm/rocFFT kind=compiled arch=gfx906 opt=O3
	.text
	.amdgcn_target "amdgcn-amd-amdhsa--gfx906"
	.amdhsa_code_object_version 6
	.protected	bluestein_single_back_len504_dim1_half_op_CI_CI ; -- Begin function bluestein_single_back_len504_dim1_half_op_CI_CI
	.globl	bluestein_single_back_len504_dim1_half_op_CI_CI
	.p2align	8
	.type	bluestein_single_back_len504_dim1_half_op_CI_CI,@function
bluestein_single_back_len504_dim1_half_op_CI_CI: ; @bluestein_single_back_len504_dim1_half_op_CI_CI
; %bb.0:
	s_load_dwordx4 s[8:11], s[4:5], 0x28
	v_mul_u32_u24_e32 v1, 0x411, v0
	v_add_u32_sdwa v13, s6, v1 dst_sel:DWORD dst_unused:UNUSED_PAD src0_sel:DWORD src1_sel:WORD_1
	v_mov_b32_e32 v14, 0
	s_waitcnt lgkmcnt(0)
	v_cmp_gt_u64_e32 vcc, s[8:9], v[13:14]
	s_and_saveexec_b64 s[0:1], vcc
	s_cbranch_execz .LBB0_23
; %bb.1:
	s_load_dwordx4 s[12:15], s[4:5], 0x18
	v_mov_b32_e32 v2, 63
	v_mul_lo_u16_sdwa v1, v1, v2 dst_sel:DWORD dst_unused:UNUSED_PAD src0_sel:WORD_1 src1_sel:DWORD
	v_sub_u16_e32 v33, v0, v1
	v_lshlrev_b32_e32 v26, 2, v33
	s_waitcnt lgkmcnt(0)
	s_load_dwordx4 s[0:3], s[12:13], 0x0
	s_waitcnt lgkmcnt(0)
	v_mad_u64_u32 v[0:1], s[6:7], s2, v13, 0
	v_mad_u64_u32 v[2:3], s[6:7], s0, v33, 0
	s_mul_i32 s6, s1, 0x48
	s_mul_hi_u32 s7, s0, 0x48
	v_mad_u64_u32 v[4:5], s[2:3], s3, v13, v[1:2]
	s_add_i32 s7, s7, s6
	s_mul_i32 s6, s0, 0x48
	v_mad_u64_u32 v[5:6], s[2:3], s1, v33, v[3:4]
	v_mov_b32_e32 v1, v4
	v_lshlrev_b64 v[0:1], 2, v[0:1]
	v_mov_b32_e32 v6, s11
	v_mov_b32_e32 v3, v5
	v_add_co_u32_e32 v4, vcc, s10, v0
	v_addc_co_u32_e32 v5, vcc, v6, v1, vcc
	v_lshlrev_b64 v[0:1], 2, v[2:3]
	s_load_dwordx2 s[2:3], s[4:5], 0x0
	v_add_co_u32_e32 v0, vcc, v4, v0
	v_addc_co_u32_e32 v1, vcc, v5, v1, vcc
	s_lshl_b64 s[12:13], s[6:7], 2
	global_load_dword v2, v[0:1], off
	v_mov_b32_e32 v3, s13
	v_add_co_u32_e32 v0, vcc, s12, v0
	v_addc_co_u32_e32 v1, vcc, v1, v3, vcc
	s_waitcnt lgkmcnt(0)
	global_load_dword v34, v26, s[2:3]
	global_load_dword v4, v[0:1], off
	global_load_dword v32, v26, s[2:3] offset:288
	v_add_co_u32_e32 v0, vcc, s12, v0
	v_addc_co_u32_e32 v1, vcc, v1, v3, vcc
	global_load_dword v5, v[0:1], off
	global_load_dword v31, v26, s[2:3] offset:576
	v_add_co_u32_e32 v0, vcc, s12, v0
	v_addc_co_u32_e32 v1, vcc, v1, v3, vcc
	;; [unrolled: 4-line block ×5, first 2 shown]
	global_load_dword v3, v[0:1], off
	global_load_dword v27, v26, s[2:3] offset:1728
	v_mov_b32_e32 v9, s3
	v_add_co_u32_e32 v11, vcc, s2, v26
	v_addc_co_u32_e32 v12, vcc, 0, v9, vcc
	s_load_dwordx2 s[6:7], s[4:5], 0x38
	s_load_dwordx4 s[8:11], s[14:15], 0x0
	v_cmp_gt_u16_e32 vcc, 9, v33
	s_waitcnt vmcnt(13)
	v_lshrrev_b32_e32 v9, 16, v2
	s_waitcnt vmcnt(12)
	v_mul_f16_sdwa v10, v34, v2 dst_sel:DWORD dst_unused:UNUSED_PAD src0_sel:WORD_1 src1_sel:DWORD
	v_mul_f16_sdwa v14, v34, v9 dst_sel:DWORD dst_unused:UNUSED_PAD src0_sel:WORD_1 src1_sel:DWORD
	v_fma_f16 v9, v34, v9, -v10
	s_waitcnt vmcnt(11)
	v_lshrrev_b32_e32 v10, 16, v4
	s_waitcnt vmcnt(10)
	v_mul_f16_sdwa v15, v32, v4 dst_sel:DWORD dst_unused:UNUSED_PAD src0_sel:WORD_1 src1_sel:DWORD
	v_fma_f16 v2, v34, v2, v14
	v_mul_f16_sdwa v14, v32, v10 dst_sel:DWORD dst_unused:UNUSED_PAD src0_sel:WORD_1 src1_sel:DWORD
	v_fma_f16 v10, v32, v10, -v15
	s_waitcnt vmcnt(9)
	v_lshrrev_b32_e32 v15, 16, v5
	s_waitcnt vmcnt(8)
	v_mul_f16_sdwa v16, v31, v5 dst_sel:DWORD dst_unused:UNUSED_PAD src0_sel:WORD_1 src1_sel:DWORD
	v_pack_b32_f16 v2, v2, v9
	v_fma_f16 v4, v32, v4, v14
	v_mul_f16_sdwa v9, v31, v15 dst_sel:DWORD dst_unused:UNUSED_PAD src0_sel:WORD_1 src1_sel:DWORD
	v_fma_f16 v14, v31, v15, -v16
	s_waitcnt vmcnt(7)
	v_lshrrev_b32_e32 v15, 16, v6
	s_waitcnt vmcnt(6)
	v_mul_f16_sdwa v16, v30, v6 dst_sel:DWORD dst_unused:UNUSED_PAD src0_sel:WORD_1 src1_sel:DWORD
	v_pack_b32_f16 v4, v4, v10
	v_fma_f16 v5, v31, v5, v9
	v_mul_f16_sdwa v9, v30, v15 dst_sel:DWORD dst_unused:UNUSED_PAD src0_sel:WORD_1 src1_sel:DWORD
	v_fma_f16 v10, v30, v15, -v16
	s_waitcnt vmcnt(5)
	v_lshrrev_b32_e32 v15, 16, v7
	ds_write2_b32 v26, v2, v4 offset1:72
	v_fma_f16 v4, v30, v6, v9
	s_waitcnt vmcnt(4)
	v_mul_f16_sdwa v16, v29, v7 dst_sel:DWORD dst_unused:UNUSED_PAD src0_sel:WORD_1 src1_sel:DWORD
	v_pack_b32_f16 v2, v5, v14
	v_mul_f16_sdwa v5, v29, v15 dst_sel:DWORD dst_unused:UNUSED_PAD src0_sel:WORD_1 src1_sel:DWORD
	v_pack_b32_f16 v4, v4, v10
	v_fma_f16 v6, v29, v15, -v16
	v_fma_f16 v5, v29, v7, v5
	ds_write2_b32 v26, v2, v4 offset0:144 offset1:216
	s_waitcnt vmcnt(3)
	v_lshrrev_b32_e32 v2, 16, v8
	v_pack_b32_f16 v4, v5, v6
	s_waitcnt vmcnt(2)
	v_mul_f16_sdwa v5, v28, v2 dst_sel:DWORD dst_unused:UNUSED_PAD src0_sel:WORD_1 src1_sel:DWORD
	v_mul_f16_sdwa v6, v28, v8 dst_sel:DWORD dst_unused:UNUSED_PAD src0_sel:WORD_1 src1_sel:DWORD
	v_fma_f16 v5, v28, v8, v5
	v_fma_f16 v2, v28, v2, -v6
	v_pack_b32_f16 v5, v5, v2
	v_add_u32_e32 v2, 0x400, v26
	ds_write2_b32 v2, v4, v5 offset0:32 offset1:104
	s_waitcnt vmcnt(1)
	v_lshrrev_b32_e32 v4, 16, v3
	s_waitcnt vmcnt(0)
	v_mul_f16_sdwa v5, v27, v4 dst_sel:DWORD dst_unused:UNUSED_PAD src0_sel:WORD_1 src1_sel:DWORD
	v_fma_f16 v5, v27, v3, v5
	v_mul_f16_sdwa v3, v27, v3 dst_sel:DWORD dst_unused:UNUSED_PAD src0_sel:WORD_1 src1_sel:DWORD
	v_fma_f16 v3, v27, v4, -v3
	v_pack_b32_f16 v3, v5, v3
	ds_write_b32 v26, v3 offset:1728
	s_and_saveexec_b64 s[14:15], vcc
	s_cbranch_execz .LBB0_3
; %bb.2:
	v_mov_b32_e32 v3, 0xfffffa3c
	v_mad_u64_u32 v[0:1], s[16:17], s0, v3, v[0:1]
	s_mulk_i32 s1, 0xfa3c
	s_sub_i32 s0, s1, s0
	v_add_u32_e32 v1, s0, v1
	global_load_dword v3, v[0:1], off
	global_load_dword v4, v[11:12], off offset:252
	v_mov_b32_e32 v5, s13
	v_add_co_u32_e64 v0, s[0:1], s12, v0
	v_addc_co_u32_e64 v1, s[0:1], v1, v5, s[0:1]
	global_load_dword v6, v[0:1], off
	global_load_dword v7, v[11:12], off offset:540
	v_add_co_u32_e64 v0, s[0:1], s12, v0
	v_addc_co_u32_e64 v1, s[0:1], v1, v5, s[0:1]
	global_load_dword v8, v[0:1], off
	global_load_dword v9, v[11:12], off offset:828
	;; [unrolled: 4-line block ×6, first 2 shown]
	v_add_u32_e32 v0, 0x200, v26
	s_waitcnt vmcnt(13)
	v_lshrrev_b32_e32 v1, 16, v3
	s_waitcnt vmcnt(12)
	v_mul_f16_sdwa v20, v4, v3 dst_sel:DWORD dst_unused:UNUSED_PAD src0_sel:WORD_1 src1_sel:DWORD
	v_mul_f16_sdwa v21, v4, v1 dst_sel:DWORD dst_unused:UNUSED_PAD src0_sel:WORD_1 src1_sel:DWORD
	v_fma_f16 v1, v4, v1, -v20
	v_fma_f16 v3, v4, v3, v21
	v_pack_b32_f16 v1, v3, v1
	s_waitcnt vmcnt(11)
	v_lshrrev_b32_e32 v20, 16, v6
	s_waitcnt vmcnt(10)
	v_mul_f16_sdwa v22, v7, v6 dst_sel:DWORD dst_unused:UNUSED_PAD src0_sel:WORD_1 src1_sel:DWORD
	v_mul_f16_sdwa v4, v7, v20 dst_sel:DWORD dst_unused:UNUSED_PAD src0_sel:WORD_1 src1_sel:DWORD
	v_fma_f16 v20, v7, v20, -v22
	v_fma_f16 v3, v7, v6, v4
	s_waitcnt vmcnt(9)
	v_lshrrev_b32_e32 v21, 16, v8
	s_waitcnt vmcnt(8)
	v_mul_f16_sdwa v22, v9, v8 dst_sel:DWORD dst_unused:UNUSED_PAD src0_sel:WORD_1 src1_sel:DWORD
	v_mul_f16_sdwa v4, v9, v21 dst_sel:DWORD dst_unused:UNUSED_PAD src0_sel:WORD_1 src1_sel:DWORD
	v_fma_f16 v6, v9, v21, -v22
	v_pack_b32_f16 v3, v3, v20
	s_waitcnt vmcnt(7)
	v_lshrrev_b32_e32 v7, 16, v10
	s_waitcnt vmcnt(6)
	v_mul_f16_sdwa v21, v14, v10 dst_sel:DWORD dst_unused:UNUSED_PAD src0_sel:WORD_1 src1_sel:DWORD
	v_fma_f16 v4, v9, v8, v4
	v_mul_f16_sdwa v8, v14, v7 dst_sel:DWORD dst_unused:UNUSED_PAD src0_sel:WORD_1 src1_sel:DWORD
	v_fma_f16 v7, v14, v7, -v21
	s_waitcnt vmcnt(5)
	v_lshrrev_b32_e32 v9, 16, v15
	s_waitcnt vmcnt(4)
	v_mul_f16_sdwa v20, v16, v15 dst_sel:DWORD dst_unused:UNUSED_PAD src0_sel:WORD_1 src1_sel:DWORD
	ds_write2_b32 v26, v1, v3 offset0:63 offset1:135
	v_pack_b32_f16 v1, v4, v6
	v_fma_f16 v3, v14, v10, v8
	v_mul_f16_sdwa v4, v16, v9 dst_sel:DWORD dst_unused:UNUSED_PAD src0_sel:WORD_1 src1_sel:DWORD
	v_fma_f16 v6, v16, v9, -v20
	s_waitcnt vmcnt(3)
	v_lshrrev_b32_e32 v8, 16, v17
	s_waitcnt vmcnt(2)
	v_mul_f16_sdwa v9, v18, v17 dst_sel:DWORD dst_unused:UNUSED_PAD src0_sel:WORD_1 src1_sel:DWORD
	v_pack_b32_f16 v3, v3, v7
	v_mul_f16_sdwa v7, v18, v8 dst_sel:DWORD dst_unused:UNUSED_PAD src0_sel:WORD_1 src1_sel:DWORD
	v_fma_f16 v8, v18, v8, -v9
	s_waitcnt vmcnt(1)
	v_lshrrev_b32_e32 v9, 16, v5
	v_fma_f16 v4, v16, v15, v4
	s_waitcnt vmcnt(0)
	v_mul_f16_sdwa v10, v19, v5 dst_sel:DWORD dst_unused:UNUSED_PAD src0_sel:WORD_1 src1_sel:DWORD
	ds_write2_b32 v0, v1, v3 offset0:79 offset1:151
	v_fma_f16 v1, v18, v17, v7
	v_mul_f16_sdwa v3, v19, v9 dst_sel:DWORD dst_unused:UNUSED_PAD src0_sel:WORD_1 src1_sel:DWORD
	v_pack_b32_f16 v0, v4, v6
	v_fma_f16 v4, v19, v9, -v10
	v_pack_b32_f16 v1, v1, v8
	v_fma_f16 v3, v19, v5, v3
	ds_write2_b32 v2, v0, v1 offset0:95 offset1:167
	v_pack_b32_f16 v0, v3, v4
	ds_write_b32 v26, v0 offset:1980
.LBB0_3:
	s_or_b64 exec, exec, s[14:15]
	s_waitcnt lgkmcnt(0)
	; wave barrier
	s_waitcnt lgkmcnt(0)
	ds_read2_b32 v[6:7], v26 offset1:72
	ds_read2_b32 v[8:9], v26 offset0:144 offset1:216
	ds_read2_b32 v[14:15], v2 offset0:32 offset1:104
	ds_read_b32 v10, v26 offset:1728
	v_mov_b32_e32 v1, 0
	v_mov_b32_e32 v2, 0
	;; [unrolled: 1-line block ×4, first 2 shown]
                                        ; implicit-def: $vgpr16
	s_and_saveexec_b64 s[0:1], vcc
	s_cbranch_execz .LBB0_5
; %bb.4:
	v_add_u32_e32 v0, 0x200, v26
	ds_read2_b32 v[2:3], v0 offset0:79 offset1:151
	v_add_u32_e32 v0, 0x400, v26
	ds_read2_b32 v[4:5], v0 offset0:95 offset1:167
	ds_read_b32 v16, v26 offset:1980
	ds_read2_b32 v[0:1], v26 offset0:63 offset1:135
.LBB0_5:
	s_or_b64 exec, exec, s[0:1]
	s_waitcnt lgkmcnt(0)
	v_pk_add_f16 v17, v7, v10
	v_pk_add_f16 v7, v7, v10 neg_lo:[0,1] neg_hi:[0,1]
	v_pk_add_f16 v10, v8, v15
	v_add_co_u32_e64 v22, s[0:1], 63, v33
	v_pk_add_f16 v8, v8, v15 neg_lo:[0,1] neg_hi:[0,1]
	v_pk_add_f16 v15, v9, v14
	v_pk_add_f16 v9, v14, v9 neg_lo:[0,1] neg_hi:[0,1]
	v_pk_add_f16 v14, v10, v17
	v_pk_add_f16 v20, v15, v10 neg_lo:[0,1] neg_hi:[0,1]
	v_pk_add_f16 v19, v8, v7 op_sel:[1,1] op_sel_hi:[0,0] neg_lo:[0,1] neg_hi:[0,1]
	v_pk_add_f16 v14, v15, v14
	s_movk_i32 s0, 0x2b26
	s_movk_i32 s1, 0x3b00
	v_pk_add_f16 v18, v10, v17 neg_lo:[0,1] neg_hi:[0,1]
	v_pk_add_f16 v10, v9, v8 op_sel:[1,1] op_sel_hi:[0,0]
	v_pk_add_f16 v21, v9, v8 op_sel:[1,1] op_sel_hi:[0,0] neg_lo:[0,1] neg_hi:[0,1]
	v_pk_add_f16 v8, v6, v14
	v_pk_mul_f16 v6, v20, s0 op_sel_hi:[1,0]
	v_pk_mul_f16 v23, v19, s1 op_sel_hi:[1,0]
	s_movk_i32 s12, 0x3cab
	s_movk_i32 s13, 0x39e0
	s_mov_b32 s14, 0xb846
	v_pk_add_f16 v24, v10, v7 op_sel:[0,1] op_sel_hi:[1,0]
	v_pk_fma_f16 v14, v14, s12, v8 op_sel_hi:[1,0,1] neg_lo:[1,0,0] neg_hi:[1,0,0]
	v_pk_fma_f16 v6, v18, s13, v6 op_sel_hi:[1,0,1] neg_lo:[0,0,1] neg_hi:[0,0,1]
	v_pk_fma_f16 v10, v21, s14, v23 op_sel_hi:[1,0,1] neg_lo:[1,0,0] neg_hi:[1,0,0]
	s_movk_i32 s15, 0x370e
	v_pk_add_f16 v6, v6, v14
	v_pk_fma_f16 v10, v24, s15, v10 op_sel_hi:[1,0,1]
	v_pk_add_f16 v19, v6, v10 neg_lo:[0,1] neg_hi:[0,1]
	v_pk_add_f16 v10, v10, v6
	v_pk_add_f16 v6, v17, v15 neg_lo:[0,1] neg_hi:[0,1]
	s_movk_i32 s16, 0x3a52
	v_pk_add_f16 v7, v7, v9 op_sel:[1,1] op_sel_hi:[0,0] neg_lo:[0,1] neg_hi:[0,1]
	v_pk_mul_f16 v9, v6, s16 op_sel_hi:[1,0]
	s_movk_i32 s17, 0x3574
	v_pk_mul_f16 v15, v7, s17 op_sel_hi:[1,0]
	v_pk_fma_f16 v6, v18, s13, v9 op_sel_hi:[1,0,1] neg_lo:[1,0,1] neg_hi:[1,0,1]
	v_pk_fma_f16 v7, v7, s17, v23 op_sel_hi:[1,0,1] neg_lo:[1,0,1] neg_hi:[1,0,1]
	v_pk_add_f16 v6, v6, v14
	v_pk_fma_f16 v7, v24, s15, v7 op_sel_hi:[1,0,1]
	v_pk_add_f16 v18, v6, v7
	v_pk_add_f16 v6, v6, v7 neg_lo:[0,1] neg_hi:[0,1]
	v_pk_fma_f16 v7, v20, s0, v9 op_sel_hi:[1,0,1]
	v_pk_fma_f16 v9, v21, s14, v15 op_sel_hi:[1,0,1]
	v_pk_add_f16 v7, v7, v14
	v_pk_fma_f16 v14, v24, s15, v9 op_sel_hi:[1,0,1]
	v_pk_add_f16 v9, v7, v14
	v_pk_add_f16 v7, v7, v14 neg_lo:[0,1] neg_hi:[0,1]
	v_pk_add_f16 v14, v16, v1
	v_pk_add_f16 v15, v5, v2
	v_pk_add_f16 v1, v1, v16 neg_lo:[0,1] neg_hi:[0,1]
	v_pk_add_f16 v2, v2, v5 neg_lo:[0,1] neg_hi:[0,1]
	v_pk_add_f16 v5, v3, v4
	v_pk_add_f16 v3, v4, v3 neg_lo:[0,1] neg_hi:[0,1]
	v_pk_add_f16 v4, v15, v14
	v_pk_add_f16 v16, v15, v14 neg_lo:[0,1] neg_hi:[0,1]
	v_pk_add_f16 v14, v14, v5 neg_lo:[0,1] neg_hi:[0,1]
	v_pk_add_f16 v15, v5, v15 neg_lo:[0,1] neg_hi:[0,1]
	v_pk_add_f16 v17, v2, v3 op_sel:[1,1] op_sel_hi:[0,0]
	v_pk_add_f16 v24, v3, v2 op_sel:[1,1] op_sel_hi:[0,0] neg_lo:[0,1] neg_hi:[0,1]
	v_pk_add_f16 v2, v2, v1 op_sel:[1,1] op_sel_hi:[0,0] neg_lo:[0,1] neg_hi:[0,1]
	v_pk_add_f16 v4, v4, v5
	v_pk_add_f16 v3, v1, v3 op_sel:[1,1] op_sel_hi:[0,0] neg_lo:[0,1] neg_hi:[0,1]
	v_pk_add_f16 v1, v1, v17 op_sel:[1,0] op_sel_hi:[0,1]
	v_pk_add_f16 v21, v4, v0
	v_pk_mul_f16 v0, v14, s16 op_sel_hi:[1,0]
	v_pk_mul_f16 v5, v15, s0 op_sel_hi:[1,0]
	;; [unrolled: 1-line block ×4, first 2 shown]
	v_pk_fma_f16 v4, v4, s12, v21 op_sel_hi:[1,0,1] neg_lo:[1,0,0] neg_hi:[1,0,0]
	v_pk_fma_f16 v15, v15, s0, v0 op_sel_hi:[1,0,1]
	v_pk_fma_f16 v5, v16, s13, v5 op_sel_hi:[1,0,1] neg_lo:[0,0,1] neg_hi:[0,0,1]
	v_pk_fma_f16 v0, v16, s13, v0 op_sel_hi:[1,0,1] neg_lo:[1,0,1] neg_hi:[1,0,1]
	v_pk_fma_f16 v16, v3, s17, v14 op_sel_hi:[1,0,1]
	v_pk_fma_f16 v2, v2, s1, v14 op_sel_hi:[1,0,1] neg_lo:[0,0,1] neg_hi:[0,0,1]
	v_pk_fma_f16 v3, v3, s17, v17 op_sel_hi:[1,0,1] neg_lo:[1,0,1] neg_hi:[1,0,1]
	s_load_dwordx2 s[4:5], s[4:5], 0x8
	v_pk_add_f16 v14, v15, v4
	v_pk_add_f16 v5, v5, v4
	;; [unrolled: 1-line block ×3, first 2 shown]
	v_pk_fma_f16 v4, v1, s15, v16 op_sel_hi:[1,0,1]
	v_pk_fma_f16 v2, v1, s15, v2 op_sel_hi:[1,0,1]
	;; [unrolled: 1-line block ×3, first 2 shown]
	s_mov_b32 s18, 0xffff
	v_pk_add_f16 v24, v14, v4
	v_pk_add_f16 v3, v14, v4 neg_lo:[0,1] neg_hi:[0,1]
	v_pk_add_f16 v4, v0, v1
	v_pk_add_f16 v0, v0, v1 neg_lo:[0,1] neg_hi:[0,1]
	v_bfi_b32 v14, s18, v4, v0
	v_pk_add_f16 v1, v5, v2 neg_lo:[0,1] neg_hi:[0,1]
	v_pk_add_f16 v2, v5, v2
	v_bfi_b32 v17, s18, v0, v4
	v_mul_lo_u16_e32 v0, 7, v33
	v_bfi_b32 v15, s18, v1, v2
	v_bfi_b32 v16, s18, v2, v1
	v_lshlrev_b32_e32 v37, 2, v0
	v_bfi_b32 v0, s18, v18, v6
	v_bfi_b32 v1, s18, v9, v7
	;; [unrolled: 1-line block ×4, first 2 shown]
	v_lshrrev_b32_e32 v25, 16, v3
	v_bfi_b32 v39, s18, v3, v24
	s_waitcnt lgkmcnt(0)
	; wave barrier
	s_waitcnt lgkmcnt(0)
	ds_write2_b32 v37, v1, v0 offset0:1 offset1:2
	v_bfi_b32 v0, s18, v10, v19
	v_bfi_b32 v1, s18, v19, v10
	v_mul_u32_u24_e32 v36, 7, v22
	ds_write_b32 v37, v8
	ds_write2_b32 v37, v1, v0 offset0:3 offset1:4
	ds_write2_b32 v37, v23, v20 offset0:5 offset1:6
	s_and_saveexec_b64 s[0:1], vcc
	s_cbranch_execz .LBB0_7
; %bb.6:
	s_mov_b32 s12, 0x5040100
	v_lshlrev_b32_e32 v0, 2, v36
	v_perm_b32 v1, v25, v24, s12
	ds_write2_b32 v0, v21, v1 offset1:1
	ds_write2_b32 v0, v14, v15 offset0:2 offset1:3
	ds_write2_b32 v0, v16, v17 offset0:4 offset1:5
	ds_write_b32 v0, v39 offset:24
.LBB0_7:
	s_or_b64 exec, exec, s[0:1]
	v_lshrrev_b32_e32 v41, 16, v19
	v_cmp_gt_u16_e64 s[0:1], 56, v33
	v_lshrrev_b32_e32 v40, 16, v7
	v_lshrrev_b32_e32 v38, 16, v6
	s_waitcnt lgkmcnt(0)
	; wave barrier
	s_waitcnt lgkmcnt(0)
	s_and_saveexec_b64 s[12:13], s[0:1]
	s_cbranch_execz .LBB0_9
; %bb.8:
	v_add_u32_e32 v0, 0x200, v26
	ds_read2_b32 v[8:9], v26 offset1:56
	ds_read2_b32 v[18:19], v26 offset0:112 offset1:168
	ds_read_b32 v24, v26 offset:1792
	ds_read2_b32 v[22:23], v0 offset0:96 offset1:152
	v_add_u32_e32 v0, 0x400, v26
	ds_read2_b32 v[20:21], v0 offset0:80 offset1:136
	s_mov_b32 s14, 0xffff
	s_waitcnt lgkmcnt(4)
	v_lshrrev_b32_e32 v40, 16, v9
	s_waitcnt lgkmcnt(3)
	v_lshrrev_b32_e32 v38, 16, v18
	;; [unrolled: 2-line block ×3, first 2 shown]
	v_lshrrev_b32_e32 v25, 16, v24
	v_bfi_b32 v10, s14, v22, v19
.LBB0_9:
	s_or_b64 exec, exec, s[12:13]
	v_mov_b32_e32 v0, 37
	v_mul_lo_u16_sdwa v0, v33, v0 dst_sel:DWORD dst_unused:UNUSED_PAD src0_sel:BYTE_0 src1_sel:DWORD
	v_sub_u16_sdwa v1, v33, v0 dst_sel:DWORD dst_unused:UNUSED_PAD src0_sel:DWORD src1_sel:BYTE_1
	v_lshrrev_b16_e32 v1, 1, v1
	v_and_b32_e32 v1, 0x7f, v1
	v_add_u16_sdwa v0, v1, v0 dst_sel:DWORD dst_unused:UNUSED_PAD src0_sel:DWORD src1_sel:BYTE_1
	v_lshrrev_b16_e32 v53, 2, v0
	v_mul_lo_u16_e32 v0, 7, v53
	v_sub_u16_e32 v0, v33, v0
	v_and_b32_e32 v35, 0xff, v0
	v_lshlrev_b32_e32 v22, 5, v35
	global_load_dwordx4 v[0:3], v22, s[4:5]
	global_load_dwordx4 v[4:7], v22, s[4:5] offset:16
	v_lshrrev_b32_e32 v42, 16, v23
	s_waitcnt lgkmcnt(0)
	v_lshrrev_b32_e32 v44, 16, v21
	v_lshrrev_b32_e32 v43, 16, v20
	s_mov_b32 s14, 0xffff
	s_movk_i32 s17, 0x3a21
	v_lshrrev_b32_e32 v22, 16, v8
	s_movk_i32 s15, 0x3be1
	s_movk_i32 s18, 0x318f
	;; [unrolled: 1-line block ×4, first 2 shown]
	s_mov_b32 s19, 0xbb84
	s_waitcnt lgkmcnt(0)
	; wave barrier
	s_waitcnt vmcnt(1)
	v_mul_f16_sdwa v45, v38, v1 dst_sel:DWORD dst_unused:UNUSED_PAD src0_sel:DWORD src1_sel:WORD_1
	s_waitcnt vmcnt(0)
	v_mul_f16_e32 v46, v23, v4
	v_lshrrev_b32_e32 v47, 16, v4
	v_mul_f16_sdwa v49, v10, v2 dst_sel:DWORD dst_unused:UNUSED_PAD src0_sel:WORD_1 src1_sel:WORD_1
	v_mul_f16_sdwa v48, v18, v1 dst_sel:DWORD dst_unused:UNUSED_PAD src0_sel:DWORD src1_sel:WORD_1
	v_mul_f16_sdwa v50, v19, v2 dst_sel:DWORD dst_unused:UNUSED_PAD src0_sel:DWORD src1_sel:WORD_1
	v_alignbit_b32 v51, v4, v4, 16
	v_mul_f16_e32 v52, v20, v5
	v_fma_f16 v42, -v42, v47, v46
	v_lshrrev_b32_e32 v46, 16, v5
	v_fma_f16 v45, v18, v1, -v45
	v_fma_f16 v19, v19, v2, -v49
	v_mul_f16_sdwa v18, v44, v6 dst_sel:DWORD dst_unused:UNUSED_PAD src0_sel:DWORD src1_sel:WORD_1
	v_mul_f16_sdwa v49, v9, v0 dst_sel:DWORD dst_unused:UNUSED_PAD src0_sel:DWORD src1_sel:WORD_1
	v_pk_mul_f16 v20, v20, v5 op_sel:[0,1] op_sel_hi:[1,0]
	v_mul_f16_sdwa v47, v21, v6 dst_sel:DWORD dst_unused:UNUSED_PAD src0_sel:DWORD src1_sel:WORD_1
	v_pk_mul_f16 v23, v23, v51
	v_mul_f16_sdwa v51, v40, v0 dst_sel:DWORD dst_unused:UNUSED_PAD src0_sel:DWORD src1_sel:WORD_1
	v_fma_f16 v46, -v43, v46, v52
	v_mul_f16_sdwa v43, v10, v2 dst_sel:DWORD dst_unused:UNUSED_PAD src0_sel:WORD_1 src1_sel:DWORD
	v_mul_f16_sdwa v52, v41, v3 dst_sel:DWORD dst_unused:UNUSED_PAD src0_sel:DWORD src1_sel:WORD_1
	v_fma_f16 v55, v21, v6, -v18
	v_mul_f16_sdwa v21, v25, v7 dst_sel:DWORD dst_unused:UNUSED_PAD src0_sel:DWORD src1_sel:WORD_1
	v_fma_f16 v40, v40, v0, v49
	v_mul_f16_sdwa v49, v24, v7 dst_sel:DWORD dst_unused:UNUSED_PAD src0_sel:DWORD src1_sel:WORD_1
	v_mul_f16_e32 v54, v41, v3
	v_mul_f16_sdwa v18, v10, v3 dst_sel:DWORD dst_unused:UNUSED_PAD src0_sel:DWORD src1_sel:WORD_1
	v_bfi_b32 v43, s14, v43, v20
	v_pack_b32_f16 v20, v50, v20
	v_fma_f16 v41, v10, v3, -v52
	v_fma_f16 v10, v24, v7, -v21
	;; [unrolled: 1-line block ×3, first 2 shown]
	v_fma_f16 v25, v25, v7, v49
	v_fma_f16 v38, v38, v1, v48
	;; [unrolled: 1-line block ×3, first 2 shown]
	v_pack_b32_f16 v48, v18, v23
	v_pk_add_f16 v51, v43, v20
	v_add_f16_e32 v9, v40, v25
	v_sub_f16_e32 v18, v24, v10
	v_bfi_b32 v47, s14, v54, v23
	v_add_f16_e32 v21, v24, v10
	v_add_f16_e32 v10, v38, v44
	v_sub_f16_e32 v25, v40, v25
	v_add_f16_e32 v43, v19, v46
	v_sub_f16_e32 v20, v45, v55
	v_sub_f16_e32 v40, v38, v44
	;; [unrolled: 1-line block ×3, first 2 shown]
	v_alignbit_b32 v19, s0, v51, 16
	v_mul_f16_e32 v38, 0x3924, v18
	v_fma_f16 v44, v9, s17, v22
	v_pk_add_f16 v50, v47, v48
	v_pk_add_f16 v47, v51, v19
	v_fma_f16 v19, v20, s15, v38
	v_fma_f16 v38, v10, s18, v44
	v_sub_f16_e32 v24, v41, v42
	v_add_f16_sdwa v46, v50, v50 dst_sel:DWORD dst_unused:UNUSED_PAD src0_sel:DWORD src1_sel:WORD_1
	v_fma_f16 v19, v49, s20, v19
	v_fma_f16 v38, v47, -0.5, v38
	v_fma_f16 v19, v24, s16, v19
	v_fma_f16 v38, v46, s19, v38
	v_add_f16_e32 v23, v45, v55
	v_mul_f16_e32 v48, 0x3924, v25
	v_fma_f16 v54, v21, s17, v8
	v_sub_f16_e32 v44, v38, v19
	v_sub_f16_sdwa v52, v51, v51 dst_sel:DWORD dst_unused:UNUSED_PAD src0_sel:DWORD src1_sel:WORD_1
	v_fma_f16 v48, v40, s15, v48
	v_fma_f16 v54, v23, s18, v54
	v_add_f16_sdwa v19, v19, v19 dst_sel:WORD_1 dst_unused:UNUSED_PAD src0_sel:DWORD src1_sel:DWORD
	v_lshlrev_b32_e32 v38, 16, v44
	v_add_f16_e32 v45, v41, v42
	v_pk_add_f16 v19, v19, v38
	v_sub_f16_sdwa v51, v50, v50 dst_sel:DWORD dst_unused:UNUSED_PAD src0_sel:DWORD src1_sel:WORD_1
	v_fma_f16 v38, v52, s20, v48
	v_fma_f16 v48, v43, -0.5, v54
	v_fma_f16 v38, v51, s16, v38
	v_fma_f16 v48, v45, s19, v48
	v_add_f16_e32 v48, v38, v48
	v_add_f16_e32 v38, v38, v38
	v_pk_add_f16 v38, v48, v38 neg_lo:[0,1] neg_hi:[0,1]
	v_bfi_b32 v19, s14, v38, v19
	v_mul_u32_u24_e32 v38, 63, v53
	s_and_saveexec_b64 s[12:13], s[0:1]
	s_cbranch_execz .LBB0_11
; %bb.10:
	v_add_f16_e32 v59, v10, v9
	v_add_f16_e32 v60, v47, v59
	;; [unrolled: 1-line block ×3, first 2 shown]
	v_add_f16_sdwa v50, v50, v60 dst_sel:DWORD dst_unused:UNUSED_PAD src0_sel:WORD_1 src1_sel:DWORD
	v_add_f16_e32 v60, v23, v21
	v_add_f16_e32 v61, v43, v60
	;; [unrolled: 1-line block ×4, first 2 shown]
	v_mul_f16_e32 v53, 0.5, v43
	v_fma_f16 v56, v23, s17, v8
	v_add_f16_e32 v41, v8, v41
	v_add_f16_e32 v43, v8, v43
	v_fma_f16 v8, v45, s17, v8
	s_mov_b32 s21, 0xb924
	v_mul_f16_e32 v57, 0x3be1, v24
	v_fma_f16 v8, v21, s18, v8
	v_mul_f16_e32 v49, 0x3aee, v49
	v_fma_f16 v57, v20, s21, -v57
	v_sub_f16_e32 v8, v8, v53
	v_mul_f16_e32 v54, 0.5, v47
	v_add_f16_e32 v57, v49, v57
	v_add_f16_e32 v47, v22, v47
	;; [unrolled: 1-line block ×3, first 2 shown]
	v_fma_f16 v8, v23, s19, v8
	v_mul_f16_e32 v23, 0xb924, v24
	v_mul_f16_e32 v55, 0x3be1, v51
	v_fma_f16 v57, v18, s16, v57
	v_fma_f16 v58, v10, s17, v22
	v_fma_f16 v47, v59, -0.5, v47
	v_add_f16_e32 v59, v24, v18
	v_fma_f16 v18, v18, s15, v23
	v_mul_f16_e32 v52, 0x3aee, v52
	v_fma_f16 v55, v40, s21, -v55
	v_fma_f16 v58, v46, s18, v58
	v_sub_f16_e32 v18, v18, v49
	v_add_f16_e32 v55, v52, v55
	v_sub_f16_e32 v58, v58, v54
	v_add_f16_e32 v42, v51, v25
	v_sub_f16_e32 v59, v59, v20
	v_mul_f16_e32 v51, 0xb924, v51
	v_fma_f16 v18, v20, s16, v18
	v_fma_f16 v20, v46, s17, v22
	;; [unrolled: 1-line block ×5, first 2 shown]
	v_add_f16_e32 v60, v45, v60
	v_fma_f16 v25, v25, s15, v51
	v_fma_f16 v9, v9, s18, v20
	v_sub_f16_e32 v56, v56, v53
	v_sub_f16_e32 v42, v42, v40
	v_fma_f16 v43, v60, -0.5, v43
	v_sub_f16_e32 v25, v25, v52
	v_sub_f16_e32 v9, v9, v54
	v_fma_f16 v56, v21, s19, v56
	v_mul_f16_e32 v61, 0x3aee, v42
	v_fma_f16 v42, v42, s20, v43
	s_mov_b32 s20, 0xbaee
	v_fma_f16 v25, v40, s16, v25
	v_fma_f16 v9, v10, s19, v9
	v_add_f16_e32 v56, v55, v56
	v_sub_f16_e32 v58, v58, v57
	v_fma_f16 v47, v59, s20, v47
	v_add_f16_e32 v8, v25, v8
	v_sub_f16_e32 v9, v9, v18
	v_fma_f16 v55, v55, -2.0, v56
	v_fma_f16 v57, v57, 2.0, v58
	v_mul_f16_e32 v60, 0x3aee, v59
	v_fma_f16 v21, v25, -2.0, v8
	v_fma_f16 v10, v18, 2.0, v9
	v_add_lshl_u32 v18, v38, v35, 2
	v_pack_b32_f16 v8, v8, v9
	v_pack_b32_f16 v9, v42, v47
	v_add_f16_e32 v50, v22, v50
	v_fma_f16 v43, v61, -2.0, v42
	v_fma_f16 v59, v60, 2.0, v47
	s_mov_b32 s15, 0x5040100
	ds_write2_b32 v18, v8, v9 offset0:14 offset1:21
	v_pack_b32_f16 v8, v56, v58
	v_pack_b32_f16 v9, v55, v57
	v_pack_b32_f16 v20, v41, v50
	v_perm_b32 v22, v44, v48, s15
	ds_write2_b32 v18, v8, v9 offset0:28 offset1:35
	v_pack_b32_f16 v8, v43, v59
	v_pack_b32_f16 v9, v21, v10
	ds_write2_b32 v18, v20, v22 offset1:7
	ds_write2_b32 v18, v8, v9 offset0:42 offset1:49
	ds_write_b32 v18, v19 offset:224
.LBB0_11:
	s_or_b64 exec, exec, s[12:13]
	s_add_u32 s12, s2, 0x7e0
	s_addc_u32 s13, s3, 0
	v_mad_u64_u32 v[46:47], s[2:3], v33, 12, s[4:5]
	s_waitcnt lgkmcnt(0)
	; wave barrier
	s_waitcnt lgkmcnt(0)
	global_load_dwordx3 v[8:10], v[46:47], off offset:224
	ds_read2_b32 v[40:41], v26 offset0:126 offset1:189
	v_add_u32_e32 v20, 0x200, v26
	ds_read2_b32 v[42:43], v20 offset0:124 offset1:187
	v_add_u32_e32 v24, 0x400, v26
	ds_read2_b32 v[44:45], v24 offset0:122 offset1:185
	s_waitcnt lgkmcnt(2)
	v_lshrrev_b32_e32 v23, 16, v40
	ds_read2_b32 v[21:22], v26 offset1:63
	s_waitcnt lgkmcnt(2)
	v_lshrrev_b32_e32 v25, 16, v42
	v_lshrrev_b32_e32 v50, 16, v41
	s_waitcnt lgkmcnt(1)
	v_lshrrev_b32_e32 v48, 16, v44
	v_lshrrev_b32_e32 v51, 16, v43
	;; [unrolled: 1-line block ×3, first 2 shown]
	s_waitcnt lgkmcnt(0)
	v_lshrrev_b32_e32 v18, 16, v21
	v_lshrrev_b32_e32 v49, 16, v22
	s_waitcnt lgkmcnt(0)
	; wave barrier
	s_waitcnt vmcnt(0)
	v_mul_f16_sdwa v53, v23, v8 dst_sel:DWORD dst_unused:UNUSED_PAD src0_sel:DWORD src1_sel:WORD_1
	v_fma_f16 v53, v40, v8, -v53
	v_mul_f16_sdwa v40, v40, v8 dst_sel:DWORD dst_unused:UNUSED_PAD src0_sel:DWORD src1_sel:WORD_1
	v_fma_f16 v23, v23, v8, v40
	v_mul_f16_sdwa v40, v25, v9 dst_sel:DWORD dst_unused:UNUSED_PAD src0_sel:DWORD src1_sel:WORD_1
	v_fma_f16 v40, v42, v9, -v40
	v_mul_f16_sdwa v42, v42, v9 dst_sel:DWORD dst_unused:UNUSED_PAD src0_sel:DWORD src1_sel:WORD_1
	v_fma_f16 v25, v25, v9, v42
	;; [unrolled: 4-line block ×5, first 2 shown]
	v_mul_f16_sdwa v51, v52, v10 dst_sel:DWORD dst_unused:UNUSED_PAD src0_sel:DWORD src1_sel:WORD_1
	v_fma_f16 v51, v45, v10, -v51
	v_mul_f16_sdwa v45, v45, v10 dst_sel:DWORD dst_unused:UNUSED_PAD src0_sel:DWORD src1_sel:WORD_1
	v_sub_f16_e32 v40, v21, v40
	v_sub_f16_e32 v25, v18, v25
	;; [unrolled: 1-line block ×4, first 2 shown]
	v_fma_f16 v45, v52, v10, v45
	v_fma_f16 v21, v21, 2.0, -v40
	v_fma_f16 v18, v18, 2.0, -v25
	;; [unrolled: 1-line block ×4, first 2 shown]
	v_sub_f16_e32 v52, v21, v52
	v_sub_f16_e32 v23, v18, v23
	;; [unrolled: 1-line block ×3, first 2 shown]
	v_add_f16_e32 v42, v25, v42
	v_sub_f16_e32 v50, v22, v50
	v_sub_f16_e32 v43, v49, v43
	;; [unrolled: 1-line block ×4, first 2 shown]
	v_fma_f16 v21, v21, 2.0, -v52
	v_fma_f16 v18, v18, 2.0, -v23
	;; [unrolled: 1-line block ×8, first 2 shown]
	v_sub_f16_e32 v48, v22, v48
	v_sub_f16_e32 v41, v49, v41
	;; [unrolled: 1-line block ×3, first 2 shown]
	v_add_f16_e32 v51, v43, v51
	v_pack_b32_f16 v18, v21, v18
	v_pack_b32_f16 v21, v40, v25
	v_fma_f16 v22, v22, 2.0, -v48
	v_fma_f16 v49, v49, 2.0, -v41
	;; [unrolled: 1-line block ×4, first 2 shown]
	ds_write2_b32 v26, v18, v21 offset1:63
	v_pack_b32_f16 v18, v52, v23
	v_pack_b32_f16 v21, v44, v42
	v_lshlrev_b32_e32 v40, 3, v33
	ds_write2_b32 v26, v18, v21 offset0:126 offset1:189
	v_pack_b32_f16 v18, v22, v49
	v_pack_b32_f16 v21, v50, v43
	v_sub_co_u32_e64 v46, s[2:3], v46, v40
	ds_write2_b32 v20, v18, v21 offset0:124 offset1:187
	v_pack_b32_f16 v18, v48, v41
	v_pack_b32_f16 v21, v45, v51
	v_subbrev_co_u32_e64 v47, s[2:3], 0, v47, s[2:3]
	ds_write2_b32 v24, v18, v21 offset0:122 offset1:185
	s_waitcnt lgkmcnt(0)
	; wave barrier
	s_waitcnt lgkmcnt(0)
	global_load_dword v40, v[46:47], off offset:980
	ds_read2_b32 v[41:42], v20 offset0:124 offset1:187
	ds_read2_b32 v[48:49], v24 offset0:122 offset1:185
	ds_read2_b32 v[21:22], v26 offset1:63
	ds_read2_b32 v[44:45], v26 offset0:126 offset1:189
	s_waitcnt lgkmcnt(3)
	v_lshrrev_b32_e32 v23, 16, v41
	v_lshrrev_b32_e32 v43, 16, v42
	s_waitcnt lgkmcnt(2)
	v_lshrrev_b32_e32 v51, 16, v48
	s_waitcnt lgkmcnt(1)
	v_lshrrev_b32_e32 v18, 16, v21
	v_lshrrev_b32_e32 v25, 16, v22
	s_waitcnt lgkmcnt(0)
	v_lshrrev_b32_e32 v50, 16, v44
	s_waitcnt vmcnt(0)
	v_mul_f16_sdwa v52, v23, v40 dst_sel:DWORD dst_unused:UNUSED_PAD src0_sel:DWORD src1_sel:WORD_1
	v_fma_f16 v52, v41, v40, -v52
	v_mul_f16_sdwa v41, v41, v40 dst_sel:DWORD dst_unused:UNUSED_PAD src0_sel:DWORD src1_sel:WORD_1
	v_fma_f16 v23, v23, v40, v41
	global_load_dword v41, v[46:47], off offset:1232
	v_sub_f16_e32 v23, v18, v23
	s_waitcnt vmcnt(0)
	v_mul_f16_sdwa v53, v43, v41 dst_sel:DWORD dst_unused:UNUSED_PAD src0_sel:DWORD src1_sel:WORD_1
	v_fma_f16 v53, v42, v41, -v53
	v_mul_f16_sdwa v42, v42, v41 dst_sel:DWORD dst_unused:UNUSED_PAD src0_sel:DWORD src1_sel:WORD_1
	v_fma_f16 v54, v43, v41, v42
	global_load_dword v42, v[46:47], off offset:1484
	s_waitcnt vmcnt(0)
	v_mul_f16_sdwa v43, v51, v42 dst_sel:DWORD dst_unused:UNUSED_PAD src0_sel:DWORD src1_sel:WORD_1
	v_fma_f16 v55, v48, v42, -v43
	v_mul_f16_sdwa v43, v48, v42 dst_sel:DWORD dst_unused:UNUSED_PAD src0_sel:DWORD src1_sel:WORD_1
	v_fma_f16 v48, v51, v42, v43
	global_load_dword v43, v[46:47], off offset:1736
	v_sub_f16_e32 v46, v21, v52
	v_fma_f16 v47, v18, 2.0, -v23
	v_sub_f16_e32 v51, v22, v53
	v_sub_f16_e32 v52, v25, v54
	v_fma_f16 v21, v21, 2.0, -v46
	v_fma_f16 v22, v22, 2.0, -v51
	;; [unrolled: 1-line block ×3, first 2 shown]
	v_sub_f16_e32 v53, v44, v55
	v_sub_f16_e32 v48, v50, v48
	v_pack_b32_f16 v21, v21, v47
	v_pack_b32_f16 v23, v46, v23
	;; [unrolled: 1-line block ×3, first 2 shown]
	v_fma_f16 v44, v44, 2.0, -v53
	v_fma_f16 v50, v50, 2.0, -v48
	ds_write_b32 v26, v23 offset:1008
	ds_write2_b32 v26, v21, v22 offset1:63
	v_pack_b32_f16 v21, v51, v52
	v_pack_b32_f16 v23, v53, v48
	;; [unrolled: 1-line block ×3, first 2 shown]
	ds_write2_b32 v24, v21, v23 offset0:59 offset1:122
	s_waitcnt vmcnt(0)
	v_pk_mul_f16 v18, v49, v43 op_sel:[0,1]
	v_pk_fma_f16 v54, v49, v43, v18 op_sel:[0,0,1] op_sel_hi:[1,1,0] neg_lo:[0,0,1] neg_hi:[0,0,1]
	v_pk_fma_f16 v18, v49, v43, v18 op_sel:[0,0,1] op_sel_hi:[1,0,0]
	v_bfi_b32 v18, s14, v54, v18
	v_pk_add_f16 v18, v45, v18 neg_lo:[0,1] neg_hi:[0,1]
	v_pk_fma_f16 v21, v45, 2.0, v18 op_sel_hi:[1,0,1] neg_lo:[0,0,1] neg_hi:[0,0,1]
	ds_write2_b32 v26, v22, v21 offset0:126 offset1:189
	ds_write_b32 v26, v18 offset:1764
	s_waitcnt lgkmcnt(0)
	; wave barrier
	s_waitcnt lgkmcnt(0)
	global_load_dword v25, v[11:12], off offset:2016
	ds_read2_b32 v[21:22], v26 offset1:72
	s_waitcnt lgkmcnt(0)
	v_lshrrev_b32_e32 v23, 16, v21
	s_waitcnt vmcnt(0)
	v_mul_f16_sdwa v44, v23, v25 dst_sel:DWORD dst_unused:UNUSED_PAD src0_sel:DWORD src1_sel:WORD_1
	v_fma_f16 v44, v21, v25, -v44
	v_mul_f16_sdwa v21, v21, v25 dst_sel:DWORD dst_unused:UNUSED_PAD src0_sel:DWORD src1_sel:WORD_1
	v_fma_f16 v21, v23, v25, v21
	global_load_dword v25, v26, s[12:13] offset:288
	v_lshrrev_b32_e32 v23, 16, v22
	v_pack_b32_f16 v21, v44, v21
	s_waitcnt vmcnt(0)
	v_mul_f16_sdwa v44, v23, v25 dst_sel:DWORD dst_unused:UNUSED_PAD src0_sel:DWORD src1_sel:WORD_1
	v_fma_f16 v44, v22, v25, -v44
	v_mul_f16_sdwa v22, v22, v25 dst_sel:DWORD dst_unused:UNUSED_PAD src0_sel:DWORD src1_sel:WORD_1
	v_fma_f16 v22, v23, v25, v22
	global_load_dword v25, v26, s[12:13] offset:576
	v_pack_b32_f16 v22, v44, v22
	ds_write2_b32 v26, v21, v22 offset1:72
	ds_read2_b32 v[21:22], v26 offset0:144 offset1:216
	s_waitcnt lgkmcnt(0)
	v_lshrrev_b32_e32 v23, 16, v21
	s_waitcnt vmcnt(0)
	v_mul_f16_sdwa v44, v23, v25 dst_sel:DWORD dst_unused:UNUSED_PAD src0_sel:DWORD src1_sel:WORD_1
	v_fma_f16 v44, v21, v25, -v44
	v_mul_f16_sdwa v21, v21, v25 dst_sel:DWORD dst_unused:UNUSED_PAD src0_sel:DWORD src1_sel:WORD_1
	v_fma_f16 v21, v23, v25, v21
	global_load_dword v25, v26, s[12:13] offset:864
	v_lshrrev_b32_e32 v23, 16, v22
	v_pack_b32_f16 v21, v44, v21
	s_waitcnt vmcnt(0)
	v_mul_f16_sdwa v44, v23, v25 dst_sel:DWORD dst_unused:UNUSED_PAD src0_sel:DWORD src1_sel:WORD_1
	v_fma_f16 v44, v22, v25, -v44
	v_mul_f16_sdwa v22, v22, v25 dst_sel:DWORD dst_unused:UNUSED_PAD src0_sel:DWORD src1_sel:WORD_1
	v_fma_f16 v22, v23, v25, v22
	global_load_dword v25, v26, s[12:13] offset:1152
	v_pack_b32_f16 v22, v44, v22
	ds_write2_b32 v26, v21, v22 offset0:144 offset1:216
	ds_read2_b32 v[21:22], v24 offset0:32 offset1:104
	s_waitcnt lgkmcnt(0)
	v_lshrrev_b32_e32 v23, 16, v21
	s_waitcnt vmcnt(0)
	v_mul_f16_sdwa v44, v23, v25 dst_sel:DWORD dst_unused:UNUSED_PAD src0_sel:DWORD src1_sel:WORD_1
	v_fma_f16 v44, v21, v25, -v44
	v_mul_f16_sdwa v21, v21, v25 dst_sel:DWORD dst_unused:UNUSED_PAD src0_sel:DWORD src1_sel:WORD_1
	v_fma_f16 v21, v23, v25, v21
	global_load_dword v25, v26, s[12:13] offset:1440
	v_lshrrev_b32_e32 v23, 16, v22
	v_pack_b32_f16 v21, v44, v21
	s_waitcnt vmcnt(0)
	v_mul_f16_sdwa v44, v23, v25 dst_sel:DWORD dst_unused:UNUSED_PAD src0_sel:DWORD src1_sel:WORD_1
	v_fma_f16 v44, v22, v25, -v44
	v_mul_f16_sdwa v22, v22, v25 dst_sel:DWORD dst_unused:UNUSED_PAD src0_sel:DWORD src1_sel:WORD_1
	v_fma_f16 v22, v23, v25, v22
	v_pack_b32_f16 v22, v44, v22
	ds_write2_b32 v24, v21, v22 offset0:32 offset1:104
	ds_read_b32 v21, v26 offset:1728
	global_load_dword v23, v26, s[12:13] offset:1728
	s_waitcnt lgkmcnt(0)
	v_lshrrev_b32_e32 v22, 16, v21
	s_waitcnt vmcnt(0)
	v_mul_f16_sdwa v25, v22, v23 dst_sel:DWORD dst_unused:UNUSED_PAD src0_sel:DWORD src1_sel:WORD_1
	v_fma_f16 v25, v21, v23, -v25
	v_mul_f16_sdwa v21, v21, v23 dst_sel:DWORD dst_unused:UNUSED_PAD src0_sel:DWORD src1_sel:WORD_1
	v_fma_f16 v21, v22, v23, v21
	v_pack_b32_f16 v21, v25, v21
	ds_write_b32 v26, v21 offset:1728
	s_and_saveexec_b64 s[4:5], vcc
	s_cbranch_execz .LBB0_13
; %bb.12:
	v_add_co_u32_e64 v21, s[2:3], s12, v26
	v_mov_b32_e32 v22, s13
	v_addc_co_u32_e64 v22, s[2:3], 0, v22, s[2:3]
	global_load_dword v25, v[21:22], off offset:252
	ds_read2_b32 v[44:45], v26 offset0:63 offset1:135
	s_waitcnt lgkmcnt(0)
	v_lshrrev_b32_e32 v23, 16, v44
	s_waitcnt vmcnt(0)
	v_mul_f16_sdwa v46, v23, v25 dst_sel:DWORD dst_unused:UNUSED_PAD src0_sel:DWORD src1_sel:WORD_1
	v_fma_f16 v46, v44, v25, -v46
	v_mul_f16_sdwa v44, v44, v25 dst_sel:DWORD dst_unused:UNUSED_PAD src0_sel:DWORD src1_sel:WORD_1
	v_fma_f16 v23, v23, v25, v44
	global_load_dword v44, v[21:22], off offset:540
	v_lshrrev_b32_e32 v25, 16, v45
	v_pack_b32_f16 v23, v46, v23
	s_waitcnt vmcnt(0)
	v_mul_f16_sdwa v46, v25, v44 dst_sel:DWORD dst_unused:UNUSED_PAD src0_sel:DWORD src1_sel:WORD_1
	v_fma_f16 v46, v45, v44, -v46
	v_mul_f16_sdwa v45, v45, v44 dst_sel:DWORD dst_unused:UNUSED_PAD src0_sel:DWORD src1_sel:WORD_1
	v_fma_f16 v25, v25, v44, v45
	v_pack_b32_f16 v25, v46, v25
	ds_write2_b32 v26, v23, v25 offset0:63 offset1:135
	global_load_dword v25, v[21:22], off offset:828
	ds_read2_b32 v[44:45], v20 offset0:79 offset1:151
	s_waitcnt lgkmcnt(0)
	v_lshrrev_b32_e32 v23, 16, v44
	s_waitcnt vmcnt(0)
	v_mul_f16_sdwa v46, v23, v25 dst_sel:DWORD dst_unused:UNUSED_PAD src0_sel:DWORD src1_sel:WORD_1
	v_fma_f16 v46, v44, v25, -v46
	v_mul_f16_sdwa v44, v44, v25 dst_sel:DWORD dst_unused:UNUSED_PAD src0_sel:DWORD src1_sel:WORD_1
	v_fma_f16 v23, v23, v25, v44
	global_load_dword v44, v[21:22], off offset:1116
	v_lshrrev_b32_e32 v25, 16, v45
	v_pack_b32_f16 v23, v46, v23
	s_waitcnt vmcnt(0)
	v_mul_f16_sdwa v46, v25, v44 dst_sel:DWORD dst_unused:UNUSED_PAD src0_sel:DWORD src1_sel:WORD_1
	v_fma_f16 v46, v45, v44, -v46
	v_mul_f16_sdwa v45, v45, v44 dst_sel:DWORD dst_unused:UNUSED_PAD src0_sel:DWORD src1_sel:WORD_1
	v_fma_f16 v25, v25, v44, v45
	v_pack_b32_f16 v25, v46, v25
	ds_write2_b32 v20, v23, v25 offset0:79 offset1:151
	global_load_dword v23, v[21:22], off offset:1404
	ds_read2_b32 v[44:45], v24 offset0:95 offset1:167
	s_waitcnt lgkmcnt(0)
	v_lshrrev_b32_e32 v20, 16, v44
	s_waitcnt vmcnt(0)
	v_mul_f16_sdwa v25, v20, v23 dst_sel:DWORD dst_unused:UNUSED_PAD src0_sel:DWORD src1_sel:WORD_1
	v_fma_f16 v25, v44, v23, -v25
	v_mul_f16_sdwa v44, v44, v23 dst_sel:DWORD dst_unused:UNUSED_PAD src0_sel:DWORD src1_sel:WORD_1
	v_fma_f16 v20, v20, v23, v44
	v_pack_b32_f16 v20, v25, v20
	global_load_dword v25, v[21:22], off offset:1692
	v_lshrrev_b32_e32 v23, 16, v45
	global_load_dword v21, v[21:22], off offset:1980
	s_waitcnt vmcnt(1)
	v_mul_f16_sdwa v44, v23, v25 dst_sel:DWORD dst_unused:UNUSED_PAD src0_sel:DWORD src1_sel:WORD_1
	v_fma_f16 v44, v45, v25, -v44
	v_mul_f16_sdwa v45, v45, v25 dst_sel:DWORD dst_unused:UNUSED_PAD src0_sel:DWORD src1_sel:WORD_1
	v_fma_f16 v23, v23, v25, v45
	v_pack_b32_f16 v23, v44, v23
	ds_write2_b32 v24, v20, v23 offset0:95 offset1:167
	ds_read_b32 v20, v26 offset:1980
	s_waitcnt lgkmcnt(0)
	v_lshrrev_b32_e32 v23, 16, v20
	s_waitcnt vmcnt(0)
	v_mul_f16_sdwa v22, v23, v21 dst_sel:DWORD dst_unused:UNUSED_PAD src0_sel:DWORD src1_sel:WORD_1
	v_fma_f16 v22, v20, v21, -v22
	v_mul_f16_sdwa v20, v20, v21 dst_sel:DWORD dst_unused:UNUSED_PAD src0_sel:DWORD src1_sel:WORD_1
	v_fma_f16 v20, v23, v21, v20
	v_pack_b32_f16 v20, v22, v20
	ds_write_b32 v26, v20 offset:1980
.LBB0_13:
	s_or_b64 exec, exec, s[4:5]
	s_waitcnt lgkmcnt(0)
	; wave barrier
	s_waitcnt lgkmcnt(0)
	ds_read2_b32 v[20:21], v26 offset1:72
	ds_read2_b32 v[22:23], v26 offset0:144 offset1:216
	ds_read2_b32 v[24:25], v24 offset0:32 offset1:104
	ds_read_b32 v44, v26 offset:1728
	s_and_saveexec_b64 s[2:3], vcc
	s_cbranch_execz .LBB0_15
; %bb.14:
	v_add_u32_e32 v14, 0x200, v26
	v_add_u32_e32 v16, 0x400, v26
	ds_read2_b32 v[18:19], v26 offset0:63 offset1:135
	ds_read2_b32 v[14:15], v14 offset0:79 offset1:151
	;; [unrolled: 1-line block ×3, first 2 shown]
	ds_read_b32 v39, v26 offset:1980
.LBB0_15:
	s_or_b64 exec, exec, s[2:3]
	s_waitcnt lgkmcnt(0)
	v_pk_add_f16 v51, v21, v44
	v_pk_add_f16 v21, v21, v44 neg_lo:[0,1] neg_hi:[0,1]
	v_pk_add_f16 v44, v22, v25
	v_pk_add_f16 v22, v22, v25 neg_lo:[0,1] neg_hi:[0,1]
	;; [unrolled: 2-line block ×4, first 2 shown]
	v_pk_add_f16 v24, v53, v22 op_sel:[1,1] op_sel_hi:[0,0]
	v_pk_add_f16 v25, v53, v22 op_sel:[1,1] op_sel_hi:[0,0] neg_lo:[0,1] neg_hi:[0,1]
	v_pk_add_f16 v23, v52, v23
	s_movk_i32 s2, 0x2b26
	s_movk_i32 s3, 0x3846
	v_pk_add_f16 v54, v44, v51 neg_lo:[0,1] neg_hi:[0,1]
	v_pk_add_f16 v22, v22, v21 op_sel:[1,1] op_sel_hi:[0,0] neg_lo:[0,1] neg_hi:[0,1]
	v_pk_add_f16 v56, v24, v21 op_sel:[0,1] op_sel_hi:[1,0]
	v_pk_add_f16 v20, v20, v23
	v_pk_mul_f16 v24, v55, s2 op_sel_hi:[1,0]
	v_pk_mul_f16 v57, v25, s3 op_sel_hi:[1,0]
	s_mov_b32 s4, 0xbb00
	s_movk_i32 s3, 0x3cab
	s_movk_i32 s5, 0x39e0
	v_pk_mul_f16 v58, v22, s4 op_sel_hi:[1,0]
	v_pk_fma_f16 v59, v23, s3, v20 op_sel_hi:[1,0,1] neg_lo:[1,0,0] neg_hi:[1,0,0]
	v_pk_fma_f16 v23, v54, s5, v24 op_sel_hi:[1,0,1] neg_lo:[0,0,1] neg_hi:[0,0,1]
	;; [unrolled: 1-line block ×3, first 2 shown]
	s_mov_b32 s15, 0xb70e
	v_pk_add_f16 v24, v23, v59
	v_pk_fma_f16 v22, v56, s15, v22 op_sel_hi:[1,0,1]
	v_pk_add_f16 v23, v24, v22 neg_lo:[0,1] neg_hi:[0,1]
	v_pk_add_f16 v24, v22, v24
	v_pk_add_f16 v25, v39, v19
	;; [unrolled: 1-line block ×4, first 2 shown]
	s_mov_b32 s12, 0xffff
	v_pk_add_f16 v19, v19, v39 neg_lo:[0,1] neg_hi:[0,1]
	v_pk_add_f16 v39, v14, v17 neg_lo:[0,1] neg_hi:[0,1]
	;; [unrolled: 1-line block ×3, first 2 shown]
	v_bfi_b32 v15, s12, v22, v25
	v_bfi_b32 v16, s12, v44, v22
	v_pk_add_f16 v45, v44, v25
	v_pk_add_f16 v15, v15, v16 neg_lo:[0,1] neg_hi:[0,1]
	v_bfi_b32 v16, s12, v25, v22
	v_bfi_b32 v17, s12, v22, v44
	v_pk_add_f16 v47, v22, v45
	v_pk_add_f16 v49, v16, v17 neg_lo:[0,1] neg_hi:[0,1]
	v_alignbit_b32 v17, v19, v14, 16
	v_alignbit_b32 v22, v14, v39, 16
	v_pk_add_f16 v16, v14, v39
	v_pk_add_f16 v17, v17, v22 neg_lo:[0,1] neg_hi:[0,1]
	v_alignbit_b32 v22, v14, v19, 16
	v_alignbit_b32 v14, v39, v14, 16
	s_mov_b32 s13, 0x3a522b26
	s_mov_b32 s16, 0xb5743846
	v_pk_add_f16 v18, v18, v47
	v_pk_add_f16 v50, v22, v14 neg_lo:[0,1] neg_hi:[0,1]
	v_pk_add_f16 v14, v16, v19
	v_pk_mul_f16 v45, v15, s13
	s_mov_b32 s13, 0x2b263a52
	s_mov_b32 s14, 0x3846b574
	v_pk_mul_f16 v48, v17, s16
	v_pk_mul_f16 v46, v14, s15 op_sel_hi:[1,0]
	v_pk_fma_f16 v47, v47, s3, v18 op_sel_hi:[1,0,1] neg_lo:[1,0,0] neg_hi:[1,0,0]
	v_pk_fma_f16 v14, v49, s13, v45
	v_pk_fma_f16 v15, v50, s14, v48
	v_pk_add_f16 v14, v14, v47
	v_pk_add_f16 v15, v46, v15 op_sel:[1,0] op_sel_hi:[0,1]
	v_pk_add_f16 v16, v14, v15
	v_pk_add_f16 v14, v14, v15 neg_lo:[0,1] neg_hi:[0,1]
	v_pk_add_f16 v15, v51, v52 neg_lo:[0,1] neg_hi:[0,1]
	s_movk_i32 s3, 0x3a52
	v_pk_mul_f16 v15, v15, s3 op_sel_hi:[1,0]
	v_pk_add_f16 v22, v21, v53 op_sel:[1,1] op_sel_hi:[0,0] neg_lo:[0,1] neg_hi:[0,1]
	v_pk_fma_f16 v17, v55, s2, v15 op_sel_hi:[1,0,1]
	s_mov_b32 s2, 0xb574
	v_pk_fma_f16 v21, v22, s2, v57 op_sel_hi:[1,0,1]
	v_pk_add_f16 v17, v17, v59
	v_pk_fma_f16 v51, v56, s15, v21 op_sel_hi:[1,0,1]
	v_pk_add_f16 v21, v17, v51
	v_pk_add_f16 v17, v17, v51 neg_lo:[0,1] neg_hi:[0,1]
	v_bfi_b32 v51, s12, v21, v17
	v_pk_fma_f16 v15, v54, s5, v15 op_sel_hi:[1,0,1] neg_lo:[1,0,1] neg_hi:[1,0,1]
	v_pk_fma_f16 v22, v22, s2, v58 op_sel_hi:[1,0,1] neg_lo:[1,0,1] neg_hi:[1,0,1]
	s_waitcnt lgkmcnt(0)
	; wave barrier
	ds_write2_b32 v37, v20, v51 offset1:1
	v_pk_add_f16 v15, v15, v59
	v_pk_fma_f16 v51, v56, s15, v22 op_sel_hi:[1,0,1]
	v_pk_add_f16 v22, v15, v51
	v_pk_add_f16 v15, v15, v51 neg_lo:[0,1] neg_hi:[0,1]
	v_bfi_b32 v51, s12, v22, v15
	ds_write_b32 v37, v51 offset:8
	v_bfi_b32 v51, s12, v24, v23
	v_bfi_b32 v52, s12, v23, v24
	ds_write2_b32 v37, v52, v51 offset0:3 offset1:4
	v_bfi_b32 v51, s12, v17, v21
	v_bfi_b32 v52, s12, v15, v22
	ds_write2_b32 v37, v52, v51 offset0:5 offset1:6
	s_and_saveexec_b64 s[2:3], vcc
	s_cbranch_execz .LBB0_17
; %bb.16:
	v_pk_mul_f16 v37, v49, s13
	v_pk_mul_f16 v49, v50, s14
	v_bfi_b32 v50, s12, v16, v14
	v_lshlrev_b32_e32 v36, 2, v36
	ds_write2_b32 v36, v18, v50 offset1:1
	v_bfi_b32 v50, s12, v37, v45
	v_pk_add_f16 v25, v44, v25 neg_lo:[0,1] neg_hi:[0,1]
	v_pk_add_f16 v19, v39, v19 neg_lo:[0,1] neg_hi:[0,1]
	v_alignbit_b32 v39, v49, v48, 16
	v_alignbit_b32 v48, v48, v49, 16
	v_bfi_b32 v37, s12, v45, v37
	v_pk_fma_f16 v44, v25, s5, v50 op_sel_hi:[1,0,1] neg_lo:[1,0,1] neg_hi:[1,0,1]
	v_pk_fma_f16 v39, v19, s4, v39 op_sel_hi:[1,0,1] neg_lo:[1,0,1] neg_hi:[1,0,1]
	;; [unrolled: 1-line block ×4, first 2 shown]
	v_pk_add_f16 v44, v44, v47
	v_pk_add_f16 v39, v46, v39
	;; [unrolled: 1-line block ×4, first 2 shown]
	v_pk_add_f16 v50, v44, v39 op_sel:[0,1] op_sel_hi:[1,0]
	v_pk_add_f16 v39, v44, v39 op_sel:[0,1] op_sel_hi:[1,0] neg_lo:[0,1] neg_hi:[0,1]
	v_pk_add_f16 v37, v25, v19 op_sel:[0,1] op_sel_hi:[1,0] neg_lo:[0,1] neg_hi:[0,1]
	v_pk_add_f16 v19, v25, v19 op_sel:[0,1] op_sel_hi:[1,0]
	v_bfi_b32 v44, s12, v50, v39
	v_bfi_b32 v25, s12, v37, v19
	ds_write2_b32 v36, v44, v25 offset0:2 offset1:3
	v_bfi_b32 v19, s12, v19, v37
	v_bfi_b32 v25, s12, v39, v50
	ds_write2_b32 v36, v19, v25 offset0:4 offset1:5
	v_bfi_b32 v19, s12, v14, v16
	ds_write_b32 v36, v19 offset:24
.LBB0_17:
	s_or_b64 exec, exec, s[2:3]
	v_lshrrev_b32_e32 v36, 16, v23
	v_lshrrev_b32_e32 v25, 16, v21
	;; [unrolled: 1-line block ×6, first 2 shown]
	s_waitcnt lgkmcnt(0)
	; wave barrier
	s_waitcnt lgkmcnt(0)
	s_and_saveexec_b64 s[2:3], s[0:1]
	s_cbranch_execz .LBB0_19
; %bb.18:
	v_add_u32_e32 v14, 0x200, v26
	v_add_u32_e32 v16, 0x400, v26
	ds_read2_b32 v[20:21], v26 offset1:56
	ds_read2_b32 v[22:23], v26 offset0:112 offset1:168
	ds_read2_b32 v[14:15], v14 offset0:96 offset1:152
	;; [unrolled: 1-line block ×3, first 2 shown]
	ds_read_b32 v16, v26 offset:1792
	s_mov_b32 s4, 0xffff
	s_waitcnt lgkmcnt(4)
	v_lshrrev_b32_e32 v19, 16, v21
	s_waitcnt lgkmcnt(3)
	v_lshrrev_b32_e32 v44, 16, v22
	;; [unrolled: 2-line block ×3, first 2 shown]
	v_lshrrev_b32_e32 v39, 16, v15
	s_waitcnt lgkmcnt(1)
	v_lshrrev_b32_e32 v25, 16, v17
	s_waitcnt lgkmcnt(0)
	v_lshrrev_b32_e32 v37, 16, v16
	v_bfi_b32 v24, s4, v14, v23
.LBB0_19:
	s_or_b64 exec, exec, s[2:3]
	s_waitcnt lgkmcnt(0)
	; wave barrier
	s_and_saveexec_b64 s[2:3], s[0:1]
	s_cbranch_execz .LBB0_21
; %bb.20:
	v_mul_f16_sdwa v56, v4, v15 dst_sel:DWORD dst_unused:UNUSED_PAD src0_sel:WORD_1 src1_sel:DWORD
	v_fma_f16 v56, v4, v39, -v56
	v_mul_f16_sdwa v39, v4, v39 dst_sel:DWORD dst_unused:UNUSED_PAD src0_sel:WORD_1 src1_sel:DWORD
	v_mul_f16_sdwa v55, v3, v24 dst_sel:DWORD dst_unused:UNUSED_PAD src0_sel:WORD_1 src1_sel:DWORD
	v_fma_f16 v4, v4, v15, v39
	v_mul_f16_sdwa v15, v3, v36 dst_sel:DWORD dst_unused:UNUSED_PAD src0_sel:WORD_1 src1_sel:DWORD
	v_lshrrev_b32_e32 v47, 16, v24
	v_mul_f16_sdwa v49, v5, v17 dst_sel:DWORD dst_unused:UNUSED_PAD src0_sel:WORD_1 src1_sel:DWORD
	v_fma_f16 v55, v3, v36, -v55
	v_fma_f16 v3, v3, v24, v15
	v_mul_f16_sdwa v24, v5, v25 dst_sel:DWORD dst_unused:UNUSED_PAD src0_sel:WORD_1 src1_sel:DWORD
	v_mul_f16_sdwa v48, v2, v23 dst_sel:DWORD dst_unused:UNUSED_PAD src0_sel:WORD_1 src1_sel:DWORD
	v_fma_f16 v49, v5, v25, -v49
	v_lshrrev_b32_e32 v52, 16, v18
	v_mul_f16_sdwa v53, v6, v18 dst_sel:DWORD dst_unused:UNUSED_PAD src0_sel:WORD_1 src1_sel:DWORD
	v_fma_f16 v5, v5, v17, v24
	v_mul_f16_sdwa v17, v2, v47 dst_sel:DWORD dst_unused:UNUSED_PAD src0_sel:WORD_1 src1_sel:DWORD
	v_mul_f16_sdwa v45, v7, v16 dst_sel:DWORD dst_unused:UNUSED_PAD src0_sel:WORD_1 src1_sel:DWORD
	v_fma_f16 v48, v2, v47, -v48
	v_fma_f16 v53, v6, v52, -v53
	v_mul_f16_sdwa v52, v6, v52 dst_sel:DWORD dst_unused:UNUSED_PAD src0_sel:WORD_1 src1_sel:DWORD
	v_fma_f16 v2, v2, v23, v17
	v_mul_f16_sdwa v23, v7, v37 dst_sel:DWORD dst_unused:UNUSED_PAD src0_sel:WORD_1 src1_sel:DWORD
	v_mul_f16_sdwa v14, v0, v21 dst_sel:DWORD dst_unused:UNUSED_PAD src0_sel:WORD_1 src1_sel:DWORD
	v_fma_f16 v45, v7, v37, -v45
	v_mul_f16_sdwa v51, v1, v22 dst_sel:DWORD dst_unused:UNUSED_PAD src0_sel:WORD_1 src1_sel:DWORD
	v_fma_f16 v6, v6, v18, v52
	v_mul_f16_sdwa v18, v1, v44 dst_sel:DWORD dst_unused:UNUSED_PAD src0_sel:WORD_1 src1_sel:DWORD
	v_fma_f16 v7, v7, v16, v23
	v_mul_f16_sdwa v16, v0, v19 dst_sel:DWORD dst_unused:UNUSED_PAD src0_sel:WORD_1 src1_sel:DWORD
	v_fma_f16 v14, v0, v19, -v14
	v_fma_f16 v51, v1, v44, -v51
	v_fma_f16 v1, v1, v22, v18
	v_fma_f16 v0, v0, v21, v16
	v_add_f16_e32 v18, v6, v1
	s_movk_i32 s12, 0x3a21
	v_add_f16_e32 v16, v7, v0
	v_fma_f16 v22, v18, s12, v20
	v_add_f16_e32 v15, v4, v3
	s_movk_i32 s13, 0x318f
	v_add_f16_e32 v17, v5, v2
	v_add_f16_e32 v39, v18, v16
	v_fma_f16 v22, v15, s13, v22
	v_add_f16_e32 v44, v17, v39
	v_sub_f16_e32 v46, v14, v45
	v_fma_f16 v22, v17, -0.5, v22
	s_mov_b32 s14, 0xbb84
	v_sub_f16_e32 v0, v0, v7
	v_sub_f16_e32 v2, v2, v5
	;; [unrolled: 1-line block ×3, first 2 shown]
	v_add_f16_e32 v7, v53, v51
	v_add_f16_e32 v14, v45, v14
	;; [unrolled: 1-line block ×3, first 2 shown]
	v_sub_f16_e32 v57, v55, v56
	v_fma_f16 v19, v16, s14, v22
	v_lshrrev_b32_e32 v22, 16, v20
	v_add_f16_e32 v24, v56, v55
	v_add_f16_e32 v25, v49, v48
	;; [unrolled: 1-line block ×6, first 2 shown]
	v_sub_f16_e32 v54, v51, v53
	v_mul_f16_e32 v58, 0x3be1, v57
	s_mov_b32 s1, 0xb924
	v_sub_f16_e32 v1, v1, v6
	v_mul_f16_e32 v6, 0x3be1, v5
	v_add_f16_e32 v37, v25, v36
	v_fma_f16 v4, v39, -0.5, v4
	v_add_f16_e32 v39, v57, v46
	v_add_f16_e32 v47, v25, v22
	;; [unrolled: 1-line block ×3, first 2 shown]
	v_fma_f16 v58, v54, s1, -v58
	v_fma_f16 v6, v1, s1, -v6
	v_sub_f16_e32 v39, v39, v54
	s_mov_b32 s1, 0xbaee
	v_fma_f16 v36, v36, -0.5, v47
	v_fma_f16 v47, v15, s12, v20
	v_sub_f16_e32 v50, v48, v49
	s_movk_i32 s0, 0x3be1
	s_movk_i32 s4, 0x3aee
	v_mul_f16_e32 v44, 0x3aee, v39
	v_fma_f16 v4, v39, s1, v4
	v_fma_f16 v47, v16, s13, v47
	v_mul_f16_e32 v48, 0xb924, v5
	v_fma_f16 v16, v16, s12, v20
	s_movk_i32 s5, 0x3579
	v_fma_f16 v6, v2, s4, v6
	v_fma_f16 v39, v44, 2.0, v4
	v_add_f16_e32 v44, v5, v0
	v_fma_f16 v48, v0, s0, v48
	v_fma_f16 v16, v18, s13, v16
	;; [unrolled: 1-line block ×3, first 2 shown]
	v_sub_f16_e32 v44, v44, v1
	v_fma_f16 v48, v2, s1, v48
	v_fma_f16 v16, v17, -0.5, v16
	v_mul_f16_e32 v0, 0x3924, v0
	v_mul_f16_e32 v45, 0x3aee, v44
	v_fma_f16 v36, v44, s4, v36
	v_fma_f16 v48, v1, s5, v48
	;; [unrolled: 1-line block ×3, first 2 shown]
	v_mul_f16_e32 v16, 0x3924, v46
	v_fma_f16 v0, v1, s0, v0
	v_fma_f16 v1, v14, s12, v22
	;; [unrolled: 1-line block ×3, first 2 shown]
	v_fma_f16 v44, v45, -2.0, v36
	v_mul_f16_e32 v45, 0xb924, v57
	v_fma_f16 v49, v24, s12, v22
	v_fma_f16 v16, v54, s0, v16
	;; [unrolled: 1-line block ×4, first 2 shown]
	v_add_f16_e32 v37, v55, v37
	v_fma_f16 v45, v46, s0, v45
	v_fma_f16 v49, v14, s13, v49
	;; [unrolled: 1-line block ×4, first 2 shown]
	v_fma_f16 v1, v25, -0.5, v1
	v_fma_f16 v58, v50, s4, v58
	v_fma_f16 v23, v25, -0.5, v23
	v_add_f16_e32 v37, v56, v37
	v_fma_f16 v45, v50, s1, v45
	v_fma_f16 v47, v17, -0.5, v47
	v_fma_f16 v49, v25, -0.5, v49
	v_fma_f16 v16, v57, s5, v16
	v_fma_f16 v0, v5, s5, v0
	;; [unrolled: 1-line block ×5, first 2 shown]
	v_add_f16_e32 v37, v22, v37
	v_add_f16_e32 v3, v20, v3
	v_fma_f16 v45, v54, s5, v45
	v_fma_f16 v47, v18, s14, v47
	;; [unrolled: 1-line block ×3, first 2 shown]
	v_sub_f16_e32 v15, v15, v16
	v_add_f16_e32 v1, v0, v1
	v_sub_f16_e32 v19, v19, v58
	v_add_f16_e32 v23, v6, v23
	;; [unrolled: 2-line block ×3, first 2 shown]
	v_fma_f16 v0, v0, -2.0, v1
	v_add_lshl_u32 v2, v38, v35, 2
	v_pack_b32_f16 v3, v3, v37
	v_pack_b32_f16 v1, v15, v1
	v_fma_f16 v21, v58, 2.0, v19
	v_fma_f16 v6, v6, -2.0, v23
	ds_write2_b32 v2, v3, v1 offset1:7
	v_pack_b32_f16 v1, v47, v49
	v_pack_b32_f16 v3, v4, v36
	v_fma_f16 v45, v45, 2.0, v47
	v_fma_f16 v48, v48, -2.0, v49
	v_fma_f16 v16, v16, 2.0, v15
	ds_write2_b32 v2, v1, v3 offset0:14 offset1:21
	v_pack_b32_f16 v1, v19, v23
	v_pack_b32_f16 v3, v21, v6
	ds_write2_b32 v2, v1, v3 offset0:28 offset1:35
	v_pack_b32_f16 v1, v39, v44
	v_pack_b32_f16 v3, v45, v48
	v_pack_b32_f16 v0, v16, v0
	ds_write2_b32 v2, v1, v3 offset0:42 offset1:49
	ds_write_b32 v2, v0 offset:224
.LBB0_21:
	s_or_b64 exec, exec, s[2:3]
	s_waitcnt lgkmcnt(0)
	; wave barrier
	s_waitcnt lgkmcnt(0)
	ds_read2_b32 v[0:1], v26 offset1:63
	ds_read2_b32 v[5:6], v26 offset0:126 offset1:189
	v_add_u32_e32 v4, 0x200, v26
	ds_read2_b32 v[14:15], v4 offset0:124 offset1:187
	v_add_u32_e32 v3, 0x400, v26
	ds_read2_b32 v[16:17], v3 offset0:122 offset1:185
	s_waitcnt lgkmcnt(2)
	v_lshrrev_b32_e32 v7, 16, v5
	v_mul_f16_sdwa v24, v8, v7 dst_sel:DWORD dst_unused:UNUSED_PAD src0_sel:WORD_1 src1_sel:DWORD
	s_waitcnt lgkmcnt(1)
	v_lshrrev_b32_e32 v18, 16, v14
	v_fma_f16 v24, v8, v5, v24
	v_mul_f16_sdwa v5, v8, v5 dst_sel:DWORD dst_unused:UNUSED_PAD src0_sel:WORD_1 src1_sel:DWORD
	v_fma_f16 v5, v8, v7, -v5
	v_mul_f16_sdwa v7, v9, v18 dst_sel:DWORD dst_unused:UNUSED_PAD src0_sel:WORD_1 src1_sel:DWORD
	s_waitcnt lgkmcnt(0)
	v_lshrrev_b32_e32 v19, 16, v16
	v_fma_f16 v7, v9, v14, v7
	v_mul_f16_sdwa v14, v9, v14 dst_sel:DWORD dst_unused:UNUSED_PAD src0_sel:WORD_1 src1_sel:DWORD
	v_fma_f16 v14, v9, v18, -v14
	v_mul_f16_sdwa v18, v10, v19 dst_sel:DWORD dst_unused:UNUSED_PAD src0_sel:WORD_1 src1_sel:DWORD
	v_lshrrev_b32_e32 v21, 16, v6
	v_fma_f16 v18, v10, v16, v18
	v_mul_f16_sdwa v16, v10, v16 dst_sel:DWORD dst_unused:UNUSED_PAD src0_sel:WORD_1 src1_sel:DWORD
	v_fma_f16 v16, v10, v19, -v16
	v_mul_f16_sdwa v19, v8, v21 dst_sel:DWORD dst_unused:UNUSED_PAD src0_sel:WORD_1 src1_sel:DWORD
	;; [unrolled: 5-line block ×4, first 2 shown]
	v_lshrrev_b32_e32 v2, 16, v0
	v_fma_f16 v15, v10, v17, v15
	v_mul_f16_sdwa v17, v10, v17 dst_sel:DWORD dst_unused:UNUSED_PAD src0_sel:WORD_1 src1_sel:DWORD
	v_fma_f16 v10, v10, v23, -v17
	v_sub_f16_e32 v7, v0, v7
	v_sub_f16_e32 v14, v2, v14
	;; [unrolled: 1-line block ×4, first 2 shown]
	v_lshrrev_b32_e32 v20, 16, v1
	v_fma_f16 v0, v0, 2.0, -v7
	v_fma_f16 v2, v2, 2.0, -v14
	;; [unrolled: 1-line block ×4, first 2 shown]
	v_sub_f16_e32 v18, v0, v18
	v_sub_f16_e32 v5, v2, v5
	v_add_f16_e32 v16, v7, v16
	v_sub_f16_e32 v17, v14, v17
	v_sub_f16_e32 v8, v1, v8
	;; [unrolled: 1-line block ×5, first 2 shown]
	v_fma_f16 v0, v0, 2.0, -v18
	v_fma_f16 v2, v2, 2.0, -v5
	;; [unrolled: 1-line block ×8, first 2 shown]
	v_sub_f16_e32 v19, v1, v19
	v_sub_f16_e32 v6, v20, v6
	v_add_f16_e32 v10, v8, v10
	v_sub_f16_e32 v15, v9, v15
	v_pack_b32_f16 v0, v0, v2
	v_pack_b32_f16 v2, v7, v14
	v_fma_f16 v1, v1, 2.0, -v19
	v_fma_f16 v20, v20, 2.0, -v6
	;; [unrolled: 1-line block ×4, first 2 shown]
	s_waitcnt lgkmcnt(0)
	; wave barrier
	ds_write2_b32 v26, v0, v2 offset1:63
	v_pack_b32_f16 v0, v18, v5
	v_pack_b32_f16 v2, v16, v17
	ds_write2_b32 v26, v0, v2 offset0:126 offset1:189
	v_pack_b32_f16 v0, v1, v20
	v_pack_b32_f16 v1, v8, v9
	ds_write2_b32 v4, v0, v1 offset0:124 offset1:187
	;; [unrolled: 3-line block ×3, first 2 shown]
	s_waitcnt lgkmcnt(0)
	; wave barrier
	s_waitcnt lgkmcnt(0)
	ds_read2_b32 v[0:1], v26 offset1:63
	ds_read2_b32 v[5:6], v4 offset0:124 offset1:187
	ds_read2_b32 v[7:8], v26 offset0:126 offset1:189
	;; [unrolled: 1-line block ×3, first 2 shown]
	s_mov_b32 s12, 0x10410410
	s_mov_b32 s13, 0x3f604104
	s_waitcnt lgkmcnt(3)
	v_lshrrev_b32_e32 v2, 16, v0
	s_waitcnt lgkmcnt(2)
	v_lshrrev_b32_e32 v14, 16, v5
	v_mul_f16_sdwa v21, v40, v14 dst_sel:DWORD dst_unused:UNUSED_PAD src0_sel:WORD_1 src1_sel:DWORD
	v_lshrrev_b32_e32 v16, 16, v6
	v_fma_f16 v21, v40, v5, v21
	v_mul_f16_sdwa v5, v40, v5 dst_sel:DWORD dst_unused:UNUSED_PAD src0_sel:WORD_1 src1_sel:DWORD
	v_fma_f16 v5, v40, v14, -v5
	v_mul_f16_sdwa v14, v41, v16 dst_sel:DWORD dst_unused:UNUSED_PAD src0_sel:WORD_1 src1_sel:DWORD
	s_waitcnt lgkmcnt(0)
	v_lshrrev_b32_e32 v18, 16, v9
	v_fma_f16 v14, v41, v6, v14
	v_mul_f16_sdwa v6, v41, v6 dst_sel:DWORD dst_unused:UNUSED_PAD src0_sel:WORD_1 src1_sel:DWORD
	v_fma_f16 v6, v41, v16, -v6
	v_mul_f16_sdwa v16, v42, v18 dst_sel:DWORD dst_unused:UNUSED_PAD src0_sel:WORD_1 src1_sel:DWORD
	v_lshrrev_b32_e32 v20, 16, v10
	v_fma_f16 v16, v42, v9, v16
	v_mul_f16_sdwa v9, v42, v9 dst_sel:DWORD dst_unused:UNUSED_PAD src0_sel:WORD_1 src1_sel:DWORD
	v_fma_f16 v9, v42, v18, -v9
	v_mul_f16_sdwa v18, v43, v20 dst_sel:DWORD dst_unused:UNUSED_PAD src0_sel:WORD_1 src1_sel:DWORD
	v_lshrrev_b32_e32 v15, 16, v1
	v_fma_f16 v18, v43, v10, v18
	v_mul_f16_sdwa v10, v43, v10 dst_sel:DWORD dst_unused:UNUSED_PAD src0_sel:WORD_1 src1_sel:DWORD
	v_fma_f16 v10, v43, v20, -v10
	v_sub_f16_e32 v20, v0, v21
	v_sub_f16_e32 v5, v2, v5
	;; [unrolled: 1-line block ×4, first 2 shown]
	v_lshrrev_b32_e32 v17, 16, v7
	v_lshrrev_b32_e32 v19, 16, v8
	v_fma_f16 v0, v0, 2.0, -v20
	v_fma_f16 v2, v2, 2.0, -v5
	;; [unrolled: 1-line block ×4, first 2 shown]
	v_sub_f16_e32 v16, v7, v16
	v_sub_f16_e32 v9, v17, v9
	;; [unrolled: 1-line block ×4, first 2 shown]
	v_pack_b32_f16 v0, v0, v2
	v_pack_b32_f16 v2, v20, v5
	;; [unrolled: 1-line block ×3, first 2 shown]
	v_fma_f16 v7, v7, 2.0, -v16
	v_fma_f16 v17, v17, 2.0, -v9
	;; [unrolled: 1-line block ×4, first 2 shown]
	ds_write_b32 v26, v2 offset:1008
	ds_write2_b32 v26, v0, v1 offset1:63
	v_pack_b32_f16 v0, v14, v6
	v_pack_b32_f16 v2, v16, v9
	;; [unrolled: 1-line block ×3, first 2 shown]
	ds_write2_b32 v3, v0, v2 offset0:59 offset1:122
	v_pack_b32_f16 v0, v8, v19
	ds_write2_b32 v26, v1, v0 offset0:126 offset1:189
	v_pack_b32_f16 v0, v18, v10
	ds_write_b32 v26, v0 offset:1764
	s_waitcnt lgkmcnt(0)
	; wave barrier
	s_waitcnt lgkmcnt(0)
	ds_read2_b32 v[0:1], v26 offset1:72
	v_mad_u64_u32 v[5:6], s[0:1], s10, v13, 0
	s_movk_i32 s10, 0x1ff
	s_movk_i32 s14, 0x40f
	s_waitcnt lgkmcnt(0)
	v_lshrrev_b32_e32 v14, 16, v0
	v_mul_f16_sdwa v2, v34, v14 dst_sel:DWORD dst_unused:UNUSED_PAD src0_sel:WORD_1 src1_sel:DWORD
	v_fma_f16 v2, v34, v0, v2
	v_cvt_f32_f16_e32 v2, v2
	v_mul_f16_sdwa v0, v34, v0 dst_sel:DWORD dst_unused:UNUSED_PAD src0_sel:WORD_1 src1_sel:DWORD
	v_fma_f16 v0, v34, v14, -v0
	v_cvt_f32_f16_e32 v0, v0
	v_cvt_f64_f32_e32 v[7:8], v2
	v_mov_b32_e32 v2, v6
	v_mad_u64_u32 v[9:10], s[0:1], s11, v13, v[2:3]
	v_mul_f64 v[7:8], v[7:8], s[12:13]
	s_movk_i32 s11, 0xffe
	v_mov_b32_e32 v6, v9
	s_mov_b32 s15, 0x8000
	v_lshlrev_b64 v[5:6], 2, v[5:6]
	v_and_or_b32 v2, v8, s10, v7
	v_cmp_ne_u32_e64 s[0:1], 0, v2
	v_cndmask_b32_e64 v2, 0, 1, s[0:1]
	v_lshrrev_b32_e32 v7, 8, v8
	v_bfe_u32 v9, v8, 20, 11
	v_and_or_b32 v7, v7, s11, v2
	v_sub_u32_e32 v10, 0x3f1, v9
	v_or_b32_e32 v2, 0x1000, v7
	v_med3_i32 v10, v10, 0, 13
	v_lshrrev_b32_e32 v13, v10, v2
	v_lshlrev_b32_e32 v10, v10, v13
	v_cmp_ne_u32_e64 s[0:1], v10, v2
	v_cndmask_b32_e64 v2, 0, 1, s[0:1]
	v_or_b32_e32 v2, v13, v2
	v_add_u32_e32 v13, 0xfffffc10, v9
	v_lshl_or_b32 v9, v13, 12, v7
	v_cmp_gt_i32_e64 s[0:1], 1, v13
	v_cndmask_b32_e64 v2, v9, v2, s[0:1]
	v_and_b32_e32 v9, 7, v2
	v_cmp_lt_i32_e64 s[0:1], 5, v9
	v_cmp_eq_u32_e64 s[2:3], 3, v9
	v_cvt_f64_f32_e32 v[9:10], v0
	v_lshrrev_b32_e32 v2, 2, v2
	s_or_b64 s[0:1], s[2:3], s[0:1]
	v_addc_co_u32_e64 v14, s[0:1], 0, v2, s[0:1]
	v_mul_f64 v[9:10], v[9:10], s[12:13]
	v_mov_b32_e32 v2, 0x7c00
	v_cmp_gt_i32_e64 s[0:1], 31, v13
	v_cndmask_b32_e64 v0, v2, v14, s[0:1]
	v_cmp_ne_u32_e64 s[0:1], 0, v7
	v_cndmask_b32_e64 v7, 0, 1, s[0:1]
	v_lshl_or_b32 v7, v7, 9, v2
	v_cmp_eq_u32_e64 s[0:1], s14, v13
	v_cndmask_b32_e64 v0, v0, v7, s[0:1]
	v_lshrrev_b32_e32 v7, 16, v8
	v_and_or_b32 v13, v7, s15, v0
	v_and_or_b32 v0, v10, s10, v9
	v_cmp_ne_u32_e64 s[0:1], 0, v0
	v_cndmask_b32_e64 v0, 0, 1, s[0:1]
	v_lshrrev_b32_e32 v7, 8, v10
	v_bfe_u32 v8, v10, 20, 11
	v_and_or_b32 v0, v7, s11, v0
	v_sub_u32_e32 v9, 0x3f1, v8
	v_or_b32_e32 v7, 0x1000, v0
	v_med3_i32 v9, v9, 0, 13
	v_lshrrev_b32_e32 v14, v9, v7
	v_lshlrev_b32_e32 v9, v9, v14
	v_cmp_ne_u32_e64 s[0:1], v9, v7
	v_cndmask_b32_e64 v7, 0, 1, s[0:1]
	v_add_u32_e32 v9, 0xfffffc10, v8
	v_or_b32_e32 v7, v14, v7
	v_lshl_or_b32 v8, v9, 12, v0
	v_cmp_gt_i32_e64 s[0:1], 1, v9
	v_cndmask_b32_e64 v7, v8, v7, s[0:1]
	v_and_b32_e32 v8, 7, v7
	v_cmp_lt_i32_e64 s[0:1], 5, v8
	v_cmp_eq_u32_e64 s[2:3], 3, v8
	v_lshrrev_b32_e32 v7, 2, v7
	s_or_b64 s[0:1], s[2:3], s[0:1]
	v_addc_co_u32_e64 v7, s[0:1], 0, v7, s[0:1]
	v_cmp_gt_i32_e64 s[0:1], 31, v9
	v_cndmask_b32_e64 v14, v2, v7, s[0:1]
	v_cmp_ne_u32_e64 s[0:1], 0, v0
	v_cndmask_b32_e64 v0, 0, 1, s[0:1]
	v_mad_u64_u32 v[7:8], s[0:1], s8, v33, 0
	v_lshl_or_b32 v0, v0, 9, v2
	v_cmp_eq_u32_e64 s[0:1], s14, v9
	v_cndmask_b32_e64 v14, v14, v0, s[0:1]
	v_mov_b32_e32 v0, v8
	v_mad_u64_u32 v[8:9], s[0:1], s9, v33, v[0:1]
	v_lshrrev_b32_e32 v0, 16, v1
	v_mul_f16_sdwa v9, v32, v0 dst_sel:DWORD dst_unused:UNUSED_PAD src0_sel:WORD_1 src1_sel:DWORD
	v_fma_f16 v9, v32, v1, v9
	v_cvt_f32_f16_e32 v9, v9
	v_lshrrev_b32_e32 v10, 16, v10
	v_and_or_b32 v14, v10, s15, v14
	v_and_b32_e32 v13, 0xffff, v13
	v_cvt_f64_f32_e32 v[9:10], v9
	v_lshl_or_b32 v13, v14, 16, v13
	v_mov_b32_e32 v14, s7
	v_add_co_u32_e64 v15, s[0:1], s6, v5
	v_mul_f64 v[9:10], v[9:10], s[12:13]
	v_addc_co_u32_e64 v14, s[0:1], v14, v6, s[0:1]
	v_lshlrev_b64 v[5:6], 2, v[7:8]
	v_mul_f16_sdwa v1, v32, v1 dst_sel:DWORD dst_unused:UNUSED_PAD src0_sel:WORD_1 src1_sel:DWORD
	v_add_co_u32_e64 v5, s[0:1], v15, v5
	v_addc_co_u32_e64 v6, s[0:1], v14, v6, s[0:1]
	v_and_or_b32 v7, v10, s10, v9
	v_cmp_ne_u32_e64 s[0:1], 0, v7
	v_fma_f16 v0, v32, v0, -v1
	v_cndmask_b32_e64 v7, 0, 1, s[0:1]
	v_lshrrev_b32_e32 v8, 8, v10
	v_bfe_u32 v9, v10, 20, 11
	v_cvt_f32_f16_e32 v0, v0
	global_store_dword v[5:6], v13, off
	v_and_or_b32 v7, v8, s11, v7
	v_sub_u32_e32 v13, 0x3f1, v9
	v_or_b32_e32 v8, 0x1000, v7
	v_med3_i32 v13, v13, 0, 13
	v_lshrrev_b32_e32 v14, v13, v8
	v_lshlrev_b32_e32 v13, v13, v14
	v_cvt_f64_f32_e32 v[0:1], v0
	v_cmp_ne_u32_e64 s[0:1], v13, v8
	v_cndmask_b32_e64 v8, 0, 1, s[0:1]
	v_add_u32_e32 v9, 0xfffffc10, v9
	v_or_b32_e32 v8, v14, v8
	v_lshl_or_b32 v13, v9, 12, v7
	v_cmp_gt_i32_e64 s[0:1], 1, v9
	v_cndmask_b32_e64 v8, v13, v8, s[0:1]
	v_mul_f64 v[0:1], v[0:1], s[12:13]
	v_and_b32_e32 v13, 7, v8
	v_cmp_lt_i32_e64 s[0:1], 5, v13
	v_cmp_eq_u32_e64 s[2:3], 3, v13
	v_lshrrev_b32_e32 v8, 2, v8
	s_or_b64 s[0:1], s[2:3], s[0:1]
	v_addc_co_u32_e64 v8, s[0:1], 0, v8, s[0:1]
	v_cmp_gt_i32_e64 s[0:1], 31, v9
	v_cndmask_b32_e64 v8, v2, v8, s[0:1]
	v_cmp_ne_u32_e64 s[0:1], 0, v7
	v_cndmask_b32_e64 v7, 0, 1, s[0:1]
	v_lshl_or_b32 v7, v7, 9, v2
	v_cmp_eq_u32_e64 s[0:1], s14, v9
	v_and_or_b32 v0, v1, s10, v0
	v_cndmask_b32_e64 v7, v8, v7, s[0:1]
	v_lshrrev_b32_e32 v8, 16, v10
	v_cmp_ne_u32_e64 s[0:1], 0, v0
	v_and_or_b32 v9, v8, s15, v7
	v_cndmask_b32_e64 v0, 0, 1, s[0:1]
	v_lshrrev_b32_e32 v7, 8, v1
	v_bfe_u32 v8, v1, 20, 11
	v_and_or_b32 v0, v7, s11, v0
	v_sub_u32_e32 v10, 0x3f1, v8
	v_or_b32_e32 v7, 0x1000, v0
	v_med3_i32 v10, v10, 0, 13
	v_lshrrev_b32_e32 v13, v10, v7
	v_lshlrev_b32_e32 v10, v10, v13
	v_cmp_ne_u32_e64 s[0:1], v10, v7
	v_cndmask_b32_e64 v7, 0, 1, s[0:1]
	v_add_u32_e32 v10, 0xfffffc10, v8
	v_or_b32_e32 v7, v13, v7
	v_lshl_or_b32 v8, v10, 12, v0
	v_cmp_gt_i32_e64 s[0:1], 1, v10
	v_cndmask_b32_e64 v7, v8, v7, s[0:1]
	v_and_b32_e32 v8, 7, v7
	v_cmp_lt_i32_e64 s[0:1], 5, v8
	v_cmp_eq_u32_e64 s[2:3], 3, v8
	v_lshrrev_b32_e32 v7, 2, v7
	s_or_b64 s[0:1], s[2:3], s[0:1]
	v_addc_co_u32_e64 v7, s[0:1], 0, v7, s[0:1]
	v_cmp_gt_i32_e64 s[0:1], 31, v10
	v_cndmask_b32_e64 v13, v2, v7, s[0:1]
	ds_read2_b32 v[7:8], v26 offset0:144 offset1:216
	v_cmp_ne_u32_e64 s[0:1], 0, v0
	v_cndmask_b32_e64 v0, 0, 1, s[0:1]
	v_lshl_or_b32 v0, v0, 9, v2
	v_cmp_eq_u32_e64 s[0:1], s14, v10
	v_cndmask_b32_e64 v0, v13, v0, s[0:1]
	v_lshrrev_b32_e32 v1, 16, v1
	s_waitcnt lgkmcnt(0)
	v_lshrrev_b32_e32 v13, 16, v7
	v_and_or_b32 v10, v1, s15, v0
	v_mul_f16_sdwa v0, v31, v13 dst_sel:DWORD dst_unused:UNUSED_PAD src0_sel:WORD_1 src1_sel:DWORD
	v_fma_f16 v0, v31, v7, v0
	v_cvt_f32_f16_e32 v0, v0
	v_and_b32_e32 v9, 0xffff, v9
	v_lshl_or_b32 v14, v10, 16, v9
	s_mul_i32 s0, s9, 0x48
	v_cvt_f64_f32_e32 v[0:1], v0
	s_mul_hi_u32 s1, s8, 0x48
	s_add_i32 s1, s1, s0
	s_mul_i32 s0, s8, 0x48
	v_mul_f64 v[9:10], v[0:1], s[12:13]
	s_lshl_b64 s[6:7], s[0:1], 2
	v_mov_b32_e32 v1, s7
	v_add_co_u32_e64 v5, s[0:1], s6, v5
	v_addc_co_u32_e64 v6, s[0:1], v6, v1, s[0:1]
	global_store_dword v[5:6], v14, off
	v_and_or_b32 v0, v10, s10, v9
	v_cmp_ne_u32_e64 s[0:1], 0, v0
	v_cndmask_b32_e64 v0, 0, 1, s[0:1]
	v_lshrrev_b32_e32 v9, 8, v10
	v_bfe_u32 v14, v10, 20, 11
	v_and_or_b32 v0, v9, s11, v0
	v_sub_u32_e32 v15, 0x3f1, v14
	v_or_b32_e32 v9, 0x1000, v0
	v_med3_i32 v15, v15, 0, 13
	v_lshrrev_b32_e32 v16, v15, v9
	v_lshlrev_b32_e32 v15, v15, v16
	v_mul_f16_sdwa v7, v31, v7 dst_sel:DWORD dst_unused:UNUSED_PAD src0_sel:WORD_1 src1_sel:DWORD
	v_cmp_ne_u32_e64 s[0:1], v15, v9
	v_fma_f16 v7, v31, v13, -v7
	v_cndmask_b32_e64 v9, 0, 1, s[0:1]
	v_add_u32_e32 v15, 0xfffffc10, v14
	v_cvt_f32_f16_e32 v7, v7
	v_or_b32_e32 v9, v16, v9
	v_lshl_or_b32 v14, v15, 12, v0
	v_cmp_gt_i32_e64 s[0:1], 1, v15
	v_cndmask_b32_e64 v9, v14, v9, s[0:1]
	v_and_b32_e32 v14, 7, v9
	v_cmp_lt_i32_e64 s[0:1], 5, v14
	v_cmp_eq_u32_e64 s[2:3], 3, v14
	v_cvt_f64_f32_e32 v[13:14], v7
	v_lshrrev_b32_e32 v9, 2, v9
	s_or_b64 s[0:1], s[2:3], s[0:1]
	v_addc_co_u32_e64 v7, s[0:1], 0, v9, s[0:1]
	v_mul_f64 v[13:14], v[13:14], s[12:13]
	v_cmp_gt_i32_e64 s[0:1], 31, v15
	v_cndmask_b32_e64 v7, v2, v7, s[0:1]
	v_cmp_ne_u32_e64 s[0:1], 0, v0
	v_cndmask_b32_e64 v0, 0, 1, s[0:1]
	v_lshl_or_b32 v0, v0, 9, v2
	v_cmp_eq_u32_e64 s[0:1], s14, v15
	v_cndmask_b32_e64 v0, v7, v0, s[0:1]
	v_lshrrev_b32_e32 v7, 16, v10
	v_and_or_b32 v0, v7, s15, v0
	v_and_or_b32 v7, v14, s10, v13
	v_cmp_ne_u32_e64 s[0:1], 0, v7
	v_cndmask_b32_e64 v7, 0, 1, s[0:1]
	v_lshrrev_b32_e32 v9, 8, v14
	v_bfe_u32 v10, v14, 20, 11
	v_and_or_b32 v7, v9, s11, v7
	v_sub_u32_e32 v13, 0x3f1, v10
	v_or_b32_e32 v9, 0x1000, v7
	v_med3_i32 v13, v13, 0, 13
	v_lshrrev_b32_e32 v15, v13, v9
	v_lshlrev_b32_e32 v13, v13, v15
	v_cmp_ne_u32_e64 s[0:1], v13, v9
	v_cndmask_b32_e64 v9, 0, 1, s[0:1]
	v_add_u32_e32 v13, 0xfffffc10, v10
	v_or_b32_e32 v9, v15, v9
	v_lshl_or_b32 v10, v13, 12, v7
	v_cmp_gt_i32_e64 s[0:1], 1, v13
	v_cndmask_b32_e64 v9, v10, v9, s[0:1]
	v_and_b32_e32 v10, 7, v9
	v_cmp_lt_i32_e64 s[0:1], 5, v10
	v_cmp_eq_u32_e64 s[2:3], 3, v10
	v_lshrrev_b32_e32 v9, 2, v9
	s_or_b64 s[0:1], s[2:3], s[0:1]
	v_addc_co_u32_e64 v9, s[0:1], 0, v9, s[0:1]
	v_cmp_gt_i32_e64 s[0:1], 31, v13
	v_lshrrev_b32_e32 v16, 16, v8
	v_cndmask_b32_e64 v15, v2, v9, s[0:1]
	v_mul_f16_sdwa v9, v30, v16 dst_sel:DWORD dst_unused:UNUSED_PAD src0_sel:WORD_1 src1_sel:DWORD
	v_fma_f16 v9, v30, v8, v9
	v_cvt_f32_f16_e32 v9, v9
	v_cmp_ne_u32_e64 s[0:1], 0, v7
	v_cndmask_b32_e64 v7, 0, 1, s[0:1]
	v_lshl_or_b32 v7, v7, 9, v2
	v_cvt_f64_f32_e32 v[9:10], v9
	v_cmp_eq_u32_e64 s[0:1], s14, v13
	v_cndmask_b32_e64 v7, v15, v7, s[0:1]
	v_lshrrev_b32_e32 v13, 16, v14
	v_mul_f64 v[9:10], v[9:10], s[12:13]
	v_and_or_b32 v7, v13, s15, v7
	v_and_b32_e32 v0, 0xffff, v0
	v_add_co_u32_e64 v5, s[0:1], s6, v5
	v_lshl_or_b32 v0, v7, 16, v0
	v_addc_co_u32_e64 v6, s[0:1], v6, v1, s[0:1]
	global_store_dword v[5:6], v0, off
	v_and_or_b32 v0, v10, s10, v9
	v_cmp_ne_u32_e64 s[0:1], 0, v0
	v_cndmask_b32_e64 v0, 0, 1, s[0:1]
	v_lshrrev_b32_e32 v7, 8, v10
	v_bfe_u32 v9, v10, 20, 11
	v_and_or_b32 v0, v7, s11, v0
	v_sub_u32_e32 v13, 0x3f1, v9
	v_or_b32_e32 v7, 0x1000, v0
	v_med3_i32 v13, v13, 0, 13
	v_lshrrev_b32_e32 v14, v13, v7
	v_lshlrev_b32_e32 v13, v13, v14
	v_mul_f16_sdwa v8, v30, v8 dst_sel:DWORD dst_unused:UNUSED_PAD src0_sel:WORD_1 src1_sel:DWORD
	v_cmp_ne_u32_e64 s[0:1], v13, v7
	v_fma_f16 v8, v30, v16, -v8
	v_cndmask_b32_e64 v7, 0, 1, s[0:1]
	v_add_u32_e32 v9, 0xfffffc10, v9
	v_cvt_f32_f16_e32 v8, v8
	v_or_b32_e32 v7, v14, v7
	v_lshl_or_b32 v13, v9, 12, v0
	v_cmp_gt_i32_e64 s[0:1], 1, v9
	v_cndmask_b32_e64 v7, v13, v7, s[0:1]
	v_and_b32_e32 v13, 7, v7
	v_cmp_lt_i32_e64 s[0:1], 5, v13
	v_cmp_eq_u32_e64 s[2:3], 3, v13
	v_lshrrev_b32_e32 v13, 2, v7
	v_cvt_f64_f32_e32 v[7:8], v8
	s_or_b64 s[0:1], s[2:3], s[0:1]
	v_addc_co_u32_e64 v13, s[0:1], 0, v13, s[0:1]
	v_mul_f64 v[7:8], v[7:8], s[12:13]
	v_cmp_gt_i32_e64 s[0:1], 31, v9
	v_cndmask_b32_e64 v13, v2, v13, s[0:1]
	v_cmp_ne_u32_e64 s[0:1], 0, v0
	v_cndmask_b32_e64 v0, 0, 1, s[0:1]
	v_lshl_or_b32 v0, v0, 9, v2
	v_cmp_eq_u32_e64 s[0:1], s14, v9
	v_cndmask_b32_e64 v0, v13, v0, s[0:1]
	v_and_or_b32 v7, v8, s10, v7
	v_lshrrev_b32_e32 v9, 16, v10
	v_cmp_ne_u32_e64 s[0:1], 0, v7
	v_and_or_b32 v0, v9, s15, v0
	v_cndmask_b32_e64 v7, 0, 1, s[0:1]
	v_lshrrev_b32_e32 v9, 8, v8
	v_bfe_u32 v10, v8, 20, 11
	v_and_or_b32 v7, v9, s11, v7
	v_sub_u32_e32 v13, 0x3f1, v10
	v_or_b32_e32 v9, 0x1000, v7
	v_med3_i32 v13, v13, 0, 13
	v_lshrrev_b32_e32 v14, v13, v9
	v_lshlrev_b32_e32 v13, v13, v14
	v_cmp_ne_u32_e64 s[0:1], v13, v9
	v_cndmask_b32_e64 v9, 0, 1, s[0:1]
	v_add_u32_e32 v15, 0xfffffc10, v10
	v_or_b32_e32 v9, v14, v9
	v_lshl_or_b32 v10, v15, 12, v7
	v_cmp_gt_i32_e64 s[0:1], 1, v15
	v_cndmask_b32_e64 v9, v10, v9, s[0:1]
	v_and_b32_e32 v10, 7, v9
	v_cmp_lt_i32_e64 s[0:1], 5, v10
	v_cmp_eq_u32_e64 s[2:3], 3, v10
	v_lshrrev_b32_e32 v13, 2, v9
	ds_read2_b32 v[9:10], v3 offset0:32 offset1:104
	s_or_b64 s[0:1], s[2:3], s[0:1]
	v_addc_co_u32_e64 v13, s[0:1], 0, v13, s[0:1]
	v_cmp_gt_i32_e64 s[0:1], 31, v15
	s_waitcnt lgkmcnt(0)
	v_lshrrev_b32_e32 v17, 16, v9
	v_cndmask_b32_e64 v16, v2, v13, s[0:1]
	v_mul_f16_sdwa v13, v29, v17 dst_sel:DWORD dst_unused:UNUSED_PAD src0_sel:WORD_1 src1_sel:DWORD
	v_fma_f16 v13, v29, v9, v13
	v_cvt_f32_f16_e32 v13, v13
	v_cmp_ne_u32_e64 s[0:1], 0, v7
	v_cndmask_b32_e64 v7, 0, 1, s[0:1]
	v_lshl_or_b32 v7, v7, 9, v2
	v_cvt_f64_f32_e32 v[13:14], v13
	v_cmp_eq_u32_e64 s[0:1], s14, v15
	v_cndmask_b32_e64 v7, v16, v7, s[0:1]
	v_lshrrev_b32_e32 v8, 16, v8
	v_and_or_b32 v15, v8, s15, v7
	v_mul_f64 v[7:8], v[13:14], s[12:13]
	v_and_b32_e32 v0, 0xffff, v0
	v_add_co_u32_e64 v5, s[0:1], s6, v5
	v_lshl_or_b32 v0, v15, 16, v0
	v_addc_co_u32_e64 v6, s[0:1], v6, v1, s[0:1]
	global_store_dword v[5:6], v0, off
	v_and_or_b32 v0, v8, s10, v7
	v_cmp_ne_u32_e64 s[0:1], 0, v0
	v_cndmask_b32_e64 v0, 0, 1, s[0:1]
	v_lshrrev_b32_e32 v7, 8, v8
	v_bfe_u32 v13, v8, 20, 11
	v_and_or_b32 v0, v7, s11, v0
	v_sub_u32_e32 v14, 0x3f1, v13
	v_or_b32_e32 v7, 0x1000, v0
	v_med3_i32 v14, v14, 0, 13
	v_lshrrev_b32_e32 v15, v14, v7
	v_lshlrev_b32_e32 v14, v14, v15
	v_cmp_ne_u32_e64 s[0:1], v14, v7
	v_mul_f16_sdwa v9, v29, v9 dst_sel:DWORD dst_unused:UNUSED_PAD src0_sel:WORD_1 src1_sel:DWORD
	v_cndmask_b32_e64 v7, 0, 1, s[0:1]
	v_fma_f16 v9, v29, v17, -v9
	v_or_b32_e32 v7, v15, v7
	v_add_u32_e32 v15, 0xfffffc10, v13
	v_cvt_f32_f16_e32 v9, v9
	v_lshl_or_b32 v13, v15, 12, v0
	v_cmp_gt_i32_e64 s[0:1], 1, v15
	v_cndmask_b32_e64 v7, v13, v7, s[0:1]
	v_and_b32_e32 v13, 7, v7
	v_cmp_lt_i32_e64 s[0:1], 5, v13
	v_cmp_eq_u32_e64 s[2:3], 3, v13
	v_cvt_f64_f32_e32 v[13:14], v9
	v_lshrrev_b32_e32 v7, 2, v7
	s_or_b64 s[0:1], s[2:3], s[0:1]
	v_addc_co_u32_e64 v7, s[0:1], 0, v7, s[0:1]
	v_mul_f64 v[13:14], v[13:14], s[12:13]
	v_cmp_gt_i32_e64 s[0:1], 31, v15
	v_cndmask_b32_e64 v7, v2, v7, s[0:1]
	v_cmp_ne_u32_e64 s[0:1], 0, v0
	v_cndmask_b32_e64 v0, 0, 1, s[0:1]
	v_lshl_or_b32 v0, v0, 9, v2
	v_cmp_eq_u32_e64 s[0:1], s14, v15
	v_cndmask_b32_e64 v0, v7, v0, s[0:1]
	v_lshrrev_b32_e32 v7, 16, v8
	v_and_or_b32 v0, v7, s15, v0
	v_and_or_b32 v7, v14, s10, v13
	v_cmp_ne_u32_e64 s[0:1], 0, v7
	v_cndmask_b32_e64 v7, 0, 1, s[0:1]
	v_lshrrev_b32_e32 v8, 8, v14
	v_bfe_u32 v9, v14, 20, 11
	v_and_or_b32 v7, v8, s11, v7
	v_sub_u32_e32 v13, 0x3f1, v9
	v_or_b32_e32 v8, 0x1000, v7
	v_med3_i32 v13, v13, 0, 13
	v_lshrrev_b32_e32 v15, v13, v8
	v_lshlrev_b32_e32 v13, v13, v15
	v_cmp_ne_u32_e64 s[0:1], v13, v8
	v_cndmask_b32_e64 v8, 0, 1, s[0:1]
	v_add_u32_e32 v9, 0xfffffc10, v9
	v_or_b32_e32 v8, v15, v8
	v_lshl_or_b32 v13, v9, 12, v7
	v_cmp_gt_i32_e64 s[0:1], 1, v9
	v_cndmask_b32_e64 v8, v13, v8, s[0:1]
	v_and_b32_e32 v13, 7, v8
	v_cmp_lt_i32_e64 s[0:1], 5, v13
	v_cmp_eq_u32_e64 s[2:3], 3, v13
	v_lshrrev_b32_e32 v8, 2, v8
	s_or_b64 s[0:1], s[2:3], s[0:1]
	v_addc_co_u32_e64 v8, s[0:1], 0, v8, s[0:1]
	v_cmp_gt_i32_e64 s[0:1], 31, v9
	v_lshrrev_b32_e32 v15, 16, v10
	v_cndmask_b32_e64 v13, v2, v8, s[0:1]
	v_mul_f16_sdwa v8, v28, v15 dst_sel:DWORD dst_unused:UNUSED_PAD src0_sel:WORD_1 src1_sel:DWORD
	v_fma_f16 v8, v28, v10, v8
	v_cvt_f32_f16_e32 v8, v8
	v_cmp_ne_u32_e64 s[0:1], 0, v7
	v_cndmask_b32_e64 v7, 0, 1, s[0:1]
	v_lshl_or_b32 v16, v7, 9, v2
	v_cvt_f64_f32_e32 v[7:8], v8
	v_cmp_eq_u32_e64 s[0:1], s14, v9
	v_cndmask_b32_e64 v9, v13, v16, s[0:1]
	v_lshrrev_b32_e32 v13, 16, v14
	v_mul_f64 v[7:8], v[7:8], s[12:13]
	v_and_or_b32 v9, v13, s15, v9
	v_and_b32_e32 v0, 0xffff, v0
	v_add_co_u32_e64 v5, s[0:1], s6, v5
	v_lshl_or_b32 v0, v9, 16, v0
	v_addc_co_u32_e64 v6, s[0:1], v6, v1, s[0:1]
	global_store_dword v[5:6], v0, off
	v_and_or_b32 v0, v8, s10, v7
	v_cmp_ne_u32_e64 s[0:1], 0, v0
	v_cndmask_b32_e64 v0, 0, 1, s[0:1]
	v_lshrrev_b32_e32 v7, 8, v8
	v_bfe_u32 v9, v8, 20, 11
	v_and_or_b32 v0, v7, s11, v0
	v_sub_u32_e32 v13, 0x3f1, v9
	v_or_b32_e32 v7, 0x1000, v0
	v_med3_i32 v13, v13, 0, 13
	v_lshrrev_b32_e32 v14, v13, v7
	v_lshlrev_b32_e32 v13, v13, v14
	v_mul_f16_sdwa v10, v28, v10 dst_sel:DWORD dst_unused:UNUSED_PAD src0_sel:WORD_1 src1_sel:DWORD
	v_cmp_ne_u32_e64 s[0:1], v13, v7
	v_fma_f16 v10, v28, v15, -v10
	v_cndmask_b32_e64 v7, 0, 1, s[0:1]
	v_add_u32_e32 v13, 0xfffffc10, v9
	v_cvt_f32_f16_e32 v10, v10
	v_or_b32_e32 v7, v14, v7
	v_lshl_or_b32 v9, v13, 12, v0
	v_cmp_gt_i32_e64 s[0:1], 1, v13
	v_cndmask_b32_e64 v7, v9, v7, s[0:1]
	v_and_b32_e32 v9, 7, v7
	v_cmp_lt_i32_e64 s[0:1], 5, v9
	v_cmp_eq_u32_e64 s[2:3], 3, v9
	v_cvt_f64_f32_e32 v[9:10], v10
	v_lshrrev_b32_e32 v7, 2, v7
	s_or_b64 s[0:1], s[2:3], s[0:1]
	v_addc_co_u32_e64 v7, s[0:1], 0, v7, s[0:1]
	v_mul_f64 v[9:10], v[9:10], s[12:13]
	v_cmp_gt_i32_e64 s[0:1], 31, v13
	v_cndmask_b32_e64 v7, v2, v7, s[0:1]
	v_cmp_ne_u32_e64 s[0:1], 0, v0
	v_cndmask_b32_e64 v0, 0, 1, s[0:1]
	v_lshl_or_b32 v0, v0, 9, v2
	v_cmp_eq_u32_e64 s[0:1], s14, v13
	v_cndmask_b32_e64 v0, v7, v0, s[0:1]
	v_lshrrev_b32_e32 v7, 16, v8
	v_and_or_b32 v0, v7, s15, v0
	v_and_or_b32 v7, v10, s10, v9
	v_cmp_ne_u32_e64 s[0:1], 0, v7
	v_cndmask_b32_e64 v7, 0, 1, s[0:1]
	v_lshrrev_b32_e32 v8, 8, v10
	v_bfe_u32 v9, v10, 20, 11
	v_and_or_b32 v7, v8, s11, v7
	v_sub_u32_e32 v13, 0x3f1, v9
	v_or_b32_e32 v8, 0x1000, v7
	v_med3_i32 v13, v13, 0, 13
	v_lshrrev_b32_e32 v14, v13, v8
	v_lshlrev_b32_e32 v13, v13, v14
	v_cmp_ne_u32_e64 s[0:1], v13, v8
	v_cndmask_b32_e64 v8, 0, 1, s[0:1]
	v_add_u32_e32 v9, 0xfffffc10, v9
	v_or_b32_e32 v8, v14, v8
	v_lshl_or_b32 v13, v9, 12, v7
	v_cmp_gt_i32_e64 s[0:1], 1, v9
	v_cndmask_b32_e64 v8, v13, v8, s[0:1]
	v_and_b32_e32 v13, 7, v8
	v_cmp_lt_i32_e64 s[0:1], 5, v13
	v_cmp_eq_u32_e64 s[2:3], 3, v13
	ds_read_b32 v13, v26 offset:1728
	v_lshrrev_b32_e32 v8, 2, v8
	s_or_b64 s[0:1], s[2:3], s[0:1]
	v_addc_co_u32_e64 v8, s[0:1], 0, v8, s[0:1]
	v_cmp_gt_i32_e64 s[0:1], 31, v9
	s_waitcnt lgkmcnt(0)
	v_lshrrev_b32_e32 v15, 16, v13
	v_cndmask_b32_e64 v14, v2, v8, s[0:1]
	v_mul_f16_sdwa v8, v27, v15 dst_sel:DWORD dst_unused:UNUSED_PAD src0_sel:WORD_1 src1_sel:DWORD
	v_fma_f16 v8, v27, v13, v8
	v_cvt_f32_f16_e32 v8, v8
	v_cmp_ne_u32_e64 s[0:1], 0, v7
	v_cndmask_b32_e64 v7, 0, 1, s[0:1]
	v_lshl_or_b32 v16, v7, 9, v2
	v_cvt_f64_f32_e32 v[7:8], v8
	v_cmp_eq_u32_e64 s[0:1], s14, v9
	v_cndmask_b32_e64 v9, v14, v16, s[0:1]
	v_lshrrev_b32_e32 v10, 16, v10
	v_mul_f64 v[7:8], v[7:8], s[12:13]
	v_and_or_b32 v9, v10, s15, v9
	v_and_b32_e32 v0, 0xffff, v0
	v_add_co_u32_e64 v5, s[0:1], s6, v5
	v_lshl_or_b32 v0, v9, 16, v0
	v_addc_co_u32_e64 v6, s[0:1], v6, v1, s[0:1]
	global_store_dword v[5:6], v0, off
	v_and_or_b32 v0, v8, s10, v7
	v_cmp_ne_u32_e64 s[0:1], 0, v0
	v_cndmask_b32_e64 v0, 0, 1, s[0:1]
	v_lshrrev_b32_e32 v7, 8, v8
	v_bfe_u32 v9, v8, 20, 11
	v_and_or_b32 v0, v7, s11, v0
	v_sub_u32_e32 v10, 0x3f1, v9
	v_or_b32_e32 v7, 0x1000, v0
	v_med3_i32 v10, v10, 0, 13
	v_lshrrev_b32_e32 v14, v10, v7
	v_lshlrev_b32_e32 v10, v10, v14
	v_cmp_ne_u32_e64 s[0:1], v10, v7
	v_mul_f16_sdwa v10, v27, v13 dst_sel:DWORD dst_unused:UNUSED_PAD src0_sel:WORD_1 src1_sel:DWORD
	v_cndmask_b32_e64 v7, 0, 1, s[0:1]
	v_fma_f16 v10, v27, v15, -v10
	v_or_b32_e32 v7, v14, v7
	v_add_u32_e32 v14, 0xfffffc10, v9
	v_cvt_f32_f16_e32 v10, v10
	v_lshl_or_b32 v9, v14, 12, v0
	v_cmp_gt_i32_e64 s[0:1], 1, v14
	v_cndmask_b32_e64 v7, v9, v7, s[0:1]
	v_and_b32_e32 v9, 7, v7
	v_cmp_lt_i32_e64 s[0:1], 5, v9
	v_cmp_eq_u32_e64 s[2:3], 3, v9
	v_cvt_f64_f32_e32 v[9:10], v10
	v_lshrrev_b32_e32 v7, 2, v7
	s_or_b64 s[0:1], s[2:3], s[0:1]
	v_addc_co_u32_e64 v7, s[0:1], 0, v7, s[0:1]
	v_mul_f64 v[9:10], v[9:10], s[12:13]
	v_cmp_gt_i32_e64 s[0:1], 31, v14
	v_cndmask_b32_e64 v7, v2, v7, s[0:1]
	v_cmp_ne_u32_e64 s[0:1], 0, v0
	v_cndmask_b32_e64 v0, 0, 1, s[0:1]
	v_lshl_or_b32 v0, v0, 9, v2
	v_cmp_eq_u32_e64 s[0:1], s14, v14
	v_cndmask_b32_e64 v0, v7, v0, s[0:1]
	v_lshrrev_b32_e32 v7, 16, v8
	v_and_or_b32 v0, v7, s15, v0
	v_and_or_b32 v7, v10, s10, v9
	v_cmp_ne_u32_e64 s[0:1], 0, v7
	v_cndmask_b32_e64 v7, 0, 1, s[0:1]
	v_lshrrev_b32_e32 v8, 8, v10
	v_bfe_u32 v9, v10, 20, 11
	v_and_or_b32 v7, v8, s11, v7
	v_sub_u32_e32 v13, 0x3f1, v9
	v_or_b32_e32 v8, 0x1000, v7
	v_med3_i32 v13, v13, 0, 13
	v_lshrrev_b32_e32 v14, v13, v8
	v_lshlrev_b32_e32 v13, v13, v14
	v_cmp_ne_u32_e64 s[0:1], v13, v8
	v_cndmask_b32_e64 v8, 0, 1, s[0:1]
	v_add_u32_e32 v9, 0xfffffc10, v9
	v_or_b32_e32 v8, v14, v8
	v_lshl_or_b32 v13, v9, 12, v7
	v_cmp_gt_i32_e64 s[0:1], 1, v9
	v_cndmask_b32_e64 v8, v13, v8, s[0:1]
	v_and_b32_e32 v13, 7, v8
	v_cmp_lt_i32_e64 s[0:1], 5, v13
	v_cmp_eq_u32_e64 s[2:3], 3, v13
	v_lshrrev_b32_e32 v8, 2, v8
	s_or_b64 s[0:1], s[2:3], s[0:1]
	v_addc_co_u32_e64 v8, s[0:1], 0, v8, s[0:1]
	v_cmp_gt_i32_e64 s[0:1], 31, v9
	v_cndmask_b32_e64 v8, v2, v8, s[0:1]
	v_cmp_ne_u32_e64 s[0:1], 0, v7
	v_cndmask_b32_e64 v7, 0, 1, s[0:1]
	v_lshl_or_b32 v7, v7, 9, v2
	v_cmp_eq_u32_e64 s[0:1], s14, v9
	v_cndmask_b32_e64 v7, v8, v7, s[0:1]
	v_lshrrev_b32_e32 v8, 16, v10
	v_and_or_b32 v7, v8, s15, v7
	v_and_b32_e32 v0, 0xffff, v0
	v_lshl_or_b32 v7, v7, 16, v0
	v_add_co_u32_e64 v0, s[0:1], s6, v5
	v_addc_co_u32_e64 v1, s[0:1], v6, v1, s[0:1]
	global_store_dword v[0:1], v7, off
	s_and_b64 exec, exec, vcc
	s_cbranch_execz .LBB0_23
; %bb.22:
	global_load_dword v7, v[11:12], off offset:252
	global_load_dword v15, v[11:12], off offset:540
	ds_read2_b32 v[5:6], v26 offset0:63 offset1:135
	global_load_dword v16, v[11:12], off offset:828
	global_load_dword v17, v[11:12], off offset:1116
	;; [unrolled: 1-line block ×3, first 2 shown]
	v_mov_b32_e32 v13, 0xfffffa3c
	v_mad_u64_u32 v[0:1], s[2:3], s8, v13, v[0:1]
	s_waitcnt lgkmcnt(0)
	v_lshrrev_b32_e32 v8, 16, v5
	v_lshrrev_b32_e32 v19, 16, v6
	s_mul_i32 s0, s9, 0xfffffa3c
	s_sub_i32 s0, s0, s8
	v_add_u32_e32 v1, s0, v1
	s_waitcnt vmcnt(4)
	v_mul_f16_sdwa v9, v8, v7 dst_sel:DWORD dst_unused:UNUSED_PAD src0_sel:DWORD src1_sel:WORD_1
	v_mul_f16_sdwa v10, v5, v7 dst_sel:DWORD dst_unused:UNUSED_PAD src0_sel:DWORD src1_sel:WORD_1
	v_fma_f16 v5, v5, v7, v9
	v_cvt_f32_f16_e32 v5, v5
	s_waitcnt vmcnt(3)
	v_mul_f16_sdwa v9, v19, v15 dst_sel:DWORD dst_unused:UNUSED_PAD src0_sel:DWORD src1_sel:WORD_1
	v_fma_f16 v7, v7, v8, -v10
	v_cvt_f32_f16_e32 v10, v7
	v_cvt_f64_f32_e32 v[7:8], v5
	v_fma_f16 v5, v6, v15, v9
	v_cvt_f32_f16_e32 v5, v5
	v_cvt_f64_f32_e32 v[9:10], v10
	v_mul_f64 v[7:8], v[7:8], s[12:13]
	v_mul_f16_sdwa v6, v6, v15 dst_sel:DWORD dst_unused:UNUSED_PAD src0_sel:DWORD src1_sel:WORD_1
	v_cvt_f64_f32_e32 v[13:14], v5
	v_mul_f64 v[9:10], v[9:10], s[12:13]
	v_fma_f16 v6, v15, v19, -v6
	v_cvt_f32_f16_e32 v6, v6
	v_mul_f64 v[13:14], v[13:14], s[12:13]
	v_and_or_b32 v5, v8, s10, v7
	v_cmp_ne_u32_e32 vcc, 0, v5
	v_lshrrev_b32_e32 v7, 8, v8
	v_and_or_b32 v9, v10, s10, v9
	v_bfe_u32 v20, v8, 20, 11
	v_cndmask_b32_e64 v5, 0, 1, vcc
	v_and_or_b32 v13, v14, s10, v13
	v_cmp_ne_u32_e32 vcc, 0, v9
	v_lshrrev_b32_e32 v21, 8, v10
	v_bfe_u32 v22, v10, 20, 11
	v_bfe_u32 v24, v14, 20, 11
	v_sub_u32_e32 v25, 0x3f1, v20
	v_cndmask_b32_e64 v9, 0, 1, vcc
	v_cmp_ne_u32_e32 vcc, 0, v13
	v_and_or_b32 v5, v7, s11, v5
	v_lshrrev_b32_e32 v23, 8, v14
	v_sub_u32_e32 v27, 0x3f1, v22
	v_cndmask_b32_e64 v13, 0, 1, vcc
	v_sub_u32_e32 v28, 0x3f1, v24
	v_med3_i32 v7, v25, 0, 13
	v_and_or_b32 v9, v21, s11, v9
	v_or_b32_e32 v25, 0x1000, v5
	v_add_u32_e32 v20, 0xfffffc10, v20
	v_med3_i32 v21, v27, 0, 13
	v_and_or_b32 v13, v23, s11, v13
	v_med3_i32 v23, v28, 0, 13
	v_cmp_ne_u32_e32 vcc, 0, v5
	v_or_b32_e32 v28, 0x1000, v9
	v_lshrrev_b32_e32 v32, v7, v25
	v_add_u32_e32 v22, 0xfffffc10, v22
	v_lshl_or_b32 v27, v20, 12, v5
	v_cndmask_b32_e64 v5, 0, 1, vcc
	v_cmp_ne_u32_e32 vcc, 0, v9
	v_or_b32_e32 v30, 0x1000, v13
	v_lshrrev_b32_e32 v33, v21, v28
	v_lshlrev_b32_e32 v7, v7, v32
	v_lshl_or_b32 v29, v22, 12, v9
	v_cndmask_b32_e64 v9, 0, 1, vcc
	v_lshrrev_b32_e32 v34, v23, v30
	v_lshlrev_b32_e32 v21, v21, v33
	v_cmp_ne_u32_e32 vcc, v7, v25
	v_lshlrev_b32_e32 v23, v23, v34
	v_cndmask_b32_e64 v7, 0, 1, vcc
	v_cmp_ne_u32_e32 vcc, v21, v28
	v_cndmask_b32_e64 v21, 0, 1, vcc
	v_cmp_ne_u32_e32 vcc, v23, v30
	v_cndmask_b32_e64 v23, 0, 1, vcc
	v_or_b32_e32 v7, v32, v7
	v_cmp_gt_i32_e32 vcc, 1, v20
	v_cndmask_b32_e32 v7, v27, v7, vcc
	v_or_b32_e32 v21, v33, v21
	v_cmp_gt_i32_e32 vcc, 1, v22
	v_and_b32_e32 v25, 7, v7
	v_cndmask_b32_e32 v21, v29, v21, vcc
	v_cmp_lt_i32_e32 vcc, 5, v25
	v_cmp_eq_u32_e64 s[0:1], 3, v25
	v_lshrrev_b32_e32 v7, 2, v7
	v_and_b32_e32 v27, 7, v21
	s_or_b64 vcc, s[0:1], vcc
	v_cmp_lt_i32_e64 s[2:3], 5, v27
	v_cmp_eq_u32_e64 s[4:5], 3, v27
	v_addc_co_u32_e32 v7, vcc, 0, v7, vcc
	v_lshrrev_b32_e32 v21, 2, v21
	s_or_b64 vcc, s[4:5], s[2:3]
	v_addc_co_u32_e32 v21, vcc, 0, v21, vcc
	v_cmp_gt_i32_e32 vcc, 31, v20
	v_cndmask_b32_e32 v7, v2, v7, vcc
	v_cmp_gt_i32_e32 vcc, 31, v22
	v_lshl_or_b32 v5, v5, 9, v2
	v_cndmask_b32_e32 v21, v2, v21, vcc
	v_cmp_eq_u32_e32 vcc, s14, v20
	v_lshrrev_b32_e32 v8, 16, v8
	v_lshl_or_b32 v9, v9, 9, v2
	v_cndmask_b32_e32 v5, v7, v5, vcc
	v_cmp_eq_u32_e32 vcc, s14, v22
	v_lshrrev_b32_e32 v10, 16, v10
	v_cndmask_b32_e32 v7, v21, v9, vcc
	v_and_or_b32 v5, v8, s15, v5
	v_add_u32_e32 v24, 0xfffffc10, v24
	v_and_or_b32 v7, v10, s15, v7
	v_and_b32_e32 v5, 0xffff, v5
	v_lshl_or_b32 v31, v24, 12, v13
	v_or_b32_e32 v23, v34, v23
	v_lshl_or_b32 v5, v7, 16, v5
	v_cmp_gt_i32_e32 vcc, 1, v24
	global_store_dword v[0:1], v5, off
	v_cndmask_b32_e32 v5, v31, v23, vcc
	v_and_b32_e32 v7, 7, v5
	v_cmp_lt_i32_e32 vcc, 5, v7
	v_cmp_eq_u32_e64 s[0:1], 3, v7
	v_lshrrev_b32_e32 v7, 2, v5
	v_cvt_f64_f32_e32 v[5:6], v6
	s_or_b64 vcc, s[0:1], vcc
	v_addc_co_u32_e32 v7, vcc, 0, v7, vcc
	v_mul_f64 v[5:6], v[5:6], s[12:13]
	v_cmp_gt_i32_e32 vcc, 31, v24
	v_cndmask_b32_e32 v7, v2, v7, vcc
	v_cmp_ne_u32_e32 vcc, 0, v13
	v_cndmask_b32_e64 v8, 0, 1, vcc
	v_lshl_or_b32 v8, v8, 9, v2
	v_cmp_eq_u32_e32 vcc, s14, v24
	v_cndmask_b32_e32 v7, v7, v8, vcc
	v_and_or_b32 v5, v6, s10, v5
	v_lshrrev_b32_e32 v8, 16, v14
	v_cmp_ne_u32_e32 vcc, 0, v5
	v_and_or_b32 v9, v8, s15, v7
	v_cndmask_b32_e64 v5, 0, 1, vcc
	v_lshrrev_b32_e32 v7, 8, v6
	v_bfe_u32 v8, v6, 20, 11
	v_and_or_b32 v7, v7, s11, v5
	v_sub_u32_e32 v10, 0x3f1, v8
	v_or_b32_e32 v5, 0x1000, v7
	v_med3_i32 v10, v10, 0, 13
	v_lshrrev_b32_e32 v13, v10, v5
	v_lshlrev_b32_e32 v10, v10, v13
	v_cmp_ne_u32_e32 vcc, v10, v5
	v_cndmask_b32_e64 v5, 0, 1, vcc
	v_add_u32_e32 v8, 0xfffffc10, v8
	v_or_b32_e32 v5, v13, v5
	v_lshl_or_b32 v10, v8, 12, v7
	v_cmp_gt_i32_e32 vcc, 1, v8
	v_cndmask_b32_e32 v5, v10, v5, vcc
	v_and_b32_e32 v10, 7, v5
	v_cmp_lt_i32_e32 vcc, 5, v10
	v_cmp_eq_u32_e64 s[0:1], 3, v10
	v_lshrrev_b32_e32 v5, 2, v5
	s_or_b64 vcc, s[0:1], vcc
	v_addc_co_u32_e32 v10, vcc, 0, v5, vcc
	ds_read2_b32 v[4:5], v4 offset0:79 offset1:151
	v_cmp_gt_i32_e32 vcc, 31, v8
	v_cndmask_b32_e32 v10, v2, v10, vcc
	v_cmp_ne_u32_e32 vcc, 0, v7
	v_cndmask_b32_e64 v7, 0, 1, vcc
	s_waitcnt lgkmcnt(0)
	v_lshrrev_b32_e32 v13, 16, v4
	s_waitcnt vmcnt(3)
	v_mul_f16_sdwa v14, v13, v16 dst_sel:DWORD dst_unused:UNUSED_PAD src0_sel:DWORD src1_sel:WORD_1
	v_fma_f16 v14, v4, v16, v14
	v_cvt_f32_f16_e32 v14, v14
	v_lshl_or_b32 v7, v7, 9, v2
	v_cmp_eq_u32_e32 vcc, s14, v8
	v_cndmask_b32_e32 v10, v10, v7, vcc
	v_cvt_f64_f32_e32 v[7:8], v14
	v_lshrrev_b32_e32 v6, 16, v6
	v_and_or_b32 v10, v6, s15, v10
	v_and_b32_e32 v9, 0xffff, v9
	v_mul_f64 v[6:7], v[7:8], s[12:13]
	v_lshl_or_b32 v8, v10, 16, v9
	v_mov_b32_e32 v10, s7
	v_add_co_u32_e32 v0, vcc, s6, v0
	v_addc_co_u32_e32 v1, vcc, v1, v10, vcc
	global_store_dword v[0:1], v8, off
	v_and_or_b32 v6, v7, s10, v6
	v_cmp_ne_u32_e32 vcc, 0, v6
	v_cndmask_b32_e64 v6, 0, 1, vcc
	v_lshrrev_b32_e32 v8, 8, v7
	v_bfe_u32 v9, v7, 20, 11
	v_and_or_b32 v6, v8, s11, v6
	v_sub_u32_e32 v14, 0x3f1, v9
	v_or_b32_e32 v8, 0x1000, v6
	v_med3_i32 v14, v14, 0, 13
	v_lshrrev_b32_e32 v15, v14, v8
	v_lshlrev_b32_e32 v14, v14, v15
	v_mul_f16_sdwa v4, v4, v16 dst_sel:DWORD dst_unused:UNUSED_PAD src0_sel:DWORD src1_sel:WORD_1
	v_cmp_ne_u32_e32 vcc, v14, v8
	v_fma_f16 v4, v16, v13, -v4
	v_cndmask_b32_e64 v8, 0, 1, vcc
	v_add_u32_e32 v14, 0xfffffc10, v9
	v_cvt_f32_f16_e32 v4, v4
	v_or_b32_e32 v8, v15, v8
	v_lshl_or_b32 v9, v14, 12, v6
	v_cmp_gt_i32_e32 vcc, 1, v14
	v_cndmask_b32_e32 v8, v9, v8, vcc
	v_and_b32_e32 v9, 7, v8
	v_cmp_lt_i32_e32 vcc, 5, v9
	v_cmp_eq_u32_e64 s[0:1], 3, v9
	v_lshrrev_b32_e32 v13, 2, v8
	v_cvt_f64_f32_e32 v[8:9], v4
	s_or_b64 vcc, s[0:1], vcc
	v_addc_co_u32_e32 v4, vcc, 0, v13, vcc
	v_mul_f64 v[8:9], v[8:9], s[12:13]
	v_cmp_gt_i32_e32 vcc, 31, v14
	v_cndmask_b32_e32 v4, v2, v4, vcc
	v_cmp_ne_u32_e32 vcc, 0, v6
	v_cndmask_b32_e64 v6, 0, 1, vcc
	v_lshl_or_b32 v6, v6, 9, v2
	v_cmp_eq_u32_e32 vcc, s14, v14
	v_cndmask_b32_e32 v4, v4, v6, vcc
	v_lshrrev_b32_e32 v6, 16, v7
	v_and_or_b32 v4, v6, s15, v4
	v_and_or_b32 v6, v9, s10, v8
	v_cmp_ne_u32_e32 vcc, 0, v6
	v_cndmask_b32_e64 v6, 0, 1, vcc
	v_lshrrev_b32_e32 v7, 8, v9
	v_bfe_u32 v8, v9, 20, 11
	v_and_or_b32 v6, v7, s11, v6
	v_sub_u32_e32 v13, 0x3f1, v8
	v_or_b32_e32 v7, 0x1000, v6
	v_med3_i32 v13, v13, 0, 13
	v_lshrrev_b32_e32 v14, v13, v7
	v_lshlrev_b32_e32 v13, v13, v14
	v_cmp_ne_u32_e32 vcc, v13, v7
	v_cndmask_b32_e64 v7, 0, 1, vcc
	v_add_u32_e32 v8, 0xfffffc10, v8
	v_or_b32_e32 v7, v14, v7
	v_lshl_or_b32 v13, v8, 12, v6
	v_cmp_gt_i32_e32 vcc, 1, v8
	v_cndmask_b32_e32 v7, v13, v7, vcc
	v_and_b32_e32 v13, 7, v7
	v_cmp_lt_i32_e32 vcc, 5, v13
	v_cmp_eq_u32_e64 s[0:1], 3, v13
	v_lshrrev_b32_e32 v7, 2, v7
	s_or_b64 vcc, s[0:1], vcc
	v_addc_co_u32_e32 v7, vcc, 0, v7, vcc
	v_cmp_gt_i32_e32 vcc, 31, v8
	v_lshrrev_b32_e32 v14, 16, v5
	v_cndmask_b32_e32 v13, v2, v7, vcc
	s_waitcnt vmcnt(3)
	v_mul_f16_sdwa v7, v14, v17 dst_sel:DWORD dst_unused:UNUSED_PAD src0_sel:DWORD src1_sel:WORD_1
	v_fma_f16 v7, v5, v17, v7
	v_cvt_f32_f16_e32 v7, v7
	v_cmp_ne_u32_e32 vcc, 0, v6
	v_cndmask_b32_e64 v6, 0, 1, vcc
	v_lshl_or_b32 v15, v6, 9, v2
	v_cvt_f64_f32_e32 v[6:7], v7
	v_cmp_eq_u32_e32 vcc, s14, v8
	v_cndmask_b32_e32 v8, v13, v15, vcc
	v_lshrrev_b32_e32 v9, 16, v9
	v_mul_f64 v[6:7], v[6:7], s[12:13]
	v_and_or_b32 v8, v9, s15, v8
	v_and_b32_e32 v4, 0xffff, v4
	v_add_co_u32_e32 v0, vcc, s6, v0
	v_lshl_or_b32 v4, v8, 16, v4
	v_addc_co_u32_e32 v1, vcc, v1, v10, vcc
	global_store_dword v[0:1], v4, off
	v_and_or_b32 v4, v7, s10, v6
	v_cmp_ne_u32_e32 vcc, 0, v4
	v_cndmask_b32_e64 v4, 0, 1, vcc
	v_lshrrev_b32_e32 v6, 8, v7
	v_bfe_u32 v8, v7, 20, 11
	v_and_or_b32 v6, v6, s11, v4
	v_sub_u32_e32 v9, 0x3f1, v8
	v_or_b32_e32 v4, 0x1000, v6
	v_med3_i32 v9, v9, 0, 13
	v_lshrrev_b32_e32 v13, v9, v4
	v_lshlrev_b32_e32 v9, v9, v13
	v_mul_f16_sdwa v5, v5, v17 dst_sel:DWORD dst_unused:UNUSED_PAD src0_sel:DWORD src1_sel:WORD_1
	v_cmp_ne_u32_e32 vcc, v9, v4
	v_fma_f16 v5, v17, v14, -v5
	v_cndmask_b32_e64 v4, 0, 1, vcc
	v_add_u32_e32 v8, 0xfffffc10, v8
	v_cvt_f32_f16_e32 v5, v5
	v_or_b32_e32 v4, v13, v4
	v_lshl_or_b32 v9, v8, 12, v6
	v_cmp_gt_i32_e32 vcc, 1, v8
	v_cndmask_b32_e32 v4, v9, v4, vcc
	v_and_b32_e32 v9, 7, v4
	v_cmp_lt_i32_e32 vcc, 5, v9
	v_cmp_eq_u32_e64 s[0:1], 3, v9
	v_lshrrev_b32_e32 v9, 2, v4
	v_cvt_f64_f32_e32 v[4:5], v5
	s_or_b64 vcc, s[0:1], vcc
	v_addc_co_u32_e32 v9, vcc, 0, v9, vcc
	v_mul_f64 v[4:5], v[4:5], s[12:13]
	v_cmp_gt_i32_e32 vcc, 31, v8
	v_cndmask_b32_e32 v9, v2, v9, vcc
	v_cmp_ne_u32_e32 vcc, 0, v6
	v_cndmask_b32_e64 v6, 0, 1, vcc
	v_lshl_or_b32 v6, v6, 9, v2
	v_cmp_eq_u32_e32 vcc, s14, v8
	v_cndmask_b32_e32 v6, v9, v6, vcc
	v_and_or_b32 v4, v5, s10, v4
	v_lshrrev_b32_e32 v7, 16, v7
	v_cmp_ne_u32_e32 vcc, 0, v4
	v_and_or_b32 v8, v7, s15, v6
	v_cndmask_b32_e64 v4, 0, 1, vcc
	v_lshrrev_b32_e32 v6, 8, v5
	v_bfe_u32 v7, v5, 20, 11
	v_and_or_b32 v6, v6, s11, v4
	v_sub_u32_e32 v9, 0x3f1, v7
	v_or_b32_e32 v4, 0x1000, v6
	v_med3_i32 v9, v9, 0, 13
	v_lshrrev_b32_e32 v13, v9, v4
	v_lshlrev_b32_e32 v9, v9, v13
	v_cmp_ne_u32_e32 vcc, v9, v4
	v_cndmask_b32_e64 v4, 0, 1, vcc
	v_add_u32_e32 v9, 0xfffffc10, v7
	v_or_b32_e32 v4, v13, v4
	v_lshl_or_b32 v7, v9, 12, v6
	v_cmp_gt_i32_e32 vcc, 1, v9
	v_cndmask_b32_e32 v4, v7, v4, vcc
	v_and_b32_e32 v7, 7, v4
	v_cmp_lt_i32_e32 vcc, 5, v7
	v_cmp_eq_u32_e64 s[0:1], 3, v7
	v_lshrrev_b32_e32 v7, 2, v4
	ds_read2_b32 v[3:4], v3 offset0:95 offset1:167
	s_or_b64 vcc, s[0:1], vcc
	v_addc_co_u32_e32 v7, vcc, 0, v7, vcc
	v_cmp_gt_i32_e32 vcc, 31, v9
	s_waitcnt lgkmcnt(0)
	v_lshrrev_b32_e32 v14, 16, v3
	v_cndmask_b32_e32 v13, v2, v7, vcc
	s_waitcnt vmcnt(3)
	v_mul_f16_sdwa v7, v14, v18 dst_sel:DWORD dst_unused:UNUSED_PAD src0_sel:DWORD src1_sel:WORD_1
	v_fma_f16 v7, v3, v18, v7
	v_cvt_f32_f16_e32 v7, v7
	v_cmp_ne_u32_e32 vcc, 0, v6
	v_cndmask_b32_e64 v6, 0, 1, vcc
	v_lshl_or_b32 v15, v6, 9, v2
	v_cvt_f64_f32_e32 v[6:7], v7
	v_cmp_eq_u32_e32 vcc, s14, v9
	v_cndmask_b32_e32 v9, v13, v15, vcc
	v_lshrrev_b32_e32 v5, 16, v5
	v_and_or_b32 v9, v5, s15, v9
	v_mul_f64 v[5:6], v[6:7], s[12:13]
	v_add_co_u32_e32 v0, vcc, s6, v0
	v_and_b32_e32 v7, 0xffff, v8
	v_addc_co_u32_e32 v1, vcc, v1, v10, vcc
	v_lshl_or_b32 v7, v9, 16, v7
	global_store_dword v[0:1], v7, off
	v_and_or_b32 v5, v6, s10, v5
	v_cmp_ne_u32_e32 vcc, 0, v5
	v_cndmask_b32_e64 v5, 0, 1, vcc
	v_lshrrev_b32_e32 v7, 8, v6
	v_bfe_u32 v8, v6, 20, 11
	v_and_or_b32 v5, v7, s11, v5
	v_sub_u32_e32 v9, 0x3f1, v8
	v_or_b32_e32 v7, 0x1000, v5
	v_med3_i32 v9, v9, 0, 13
	v_lshrrev_b32_e32 v13, v9, v7
	v_lshlrev_b32_e32 v9, v9, v13
	v_mul_f16_sdwa v3, v3, v18 dst_sel:DWORD dst_unused:UNUSED_PAD src0_sel:DWORD src1_sel:WORD_1
	v_cmp_ne_u32_e32 vcc, v9, v7
	v_fma_f16 v3, v18, v14, -v3
	v_cndmask_b32_e64 v7, 0, 1, vcc
	v_add_u32_e32 v9, 0xfffffc10, v8
	v_cvt_f32_f16_e32 v3, v3
	v_or_b32_e32 v7, v13, v7
	v_lshl_or_b32 v8, v9, 12, v5
	v_cmp_gt_i32_e32 vcc, 1, v9
	v_cndmask_b32_e32 v7, v8, v7, vcc
	v_and_b32_e32 v8, 7, v7
	v_cmp_lt_i32_e32 vcc, 5, v8
	v_cmp_eq_u32_e64 s[0:1], 3, v8
	v_lshrrev_b32_e32 v13, 2, v7
	v_cvt_f64_f32_e32 v[7:8], v3
	s_or_b64 vcc, s[0:1], vcc
	v_addc_co_u32_e32 v3, vcc, 0, v13, vcc
	v_mul_f64 v[7:8], v[7:8], s[12:13]
	v_cmp_gt_i32_e32 vcc, 31, v9
	v_cndmask_b32_e32 v3, v2, v3, vcc
	v_cmp_ne_u32_e32 vcc, 0, v5
	v_cndmask_b32_e64 v5, 0, 1, vcc
	v_lshl_or_b32 v5, v5, 9, v2
	v_cmp_eq_u32_e32 vcc, s14, v9
	v_cndmask_b32_e32 v3, v3, v5, vcc
	v_lshrrev_b32_e32 v5, 16, v6
	v_and_or_b32 v3, v5, s15, v3
	v_and_or_b32 v5, v8, s10, v7
	v_cmp_ne_u32_e32 vcc, 0, v5
	v_cndmask_b32_e64 v5, 0, 1, vcc
	v_lshrrev_b32_e32 v6, 8, v8
	v_bfe_u32 v7, v8, 20, 11
	v_and_or_b32 v5, v6, s11, v5
	v_sub_u32_e32 v9, 0x3f1, v7
	v_or_b32_e32 v6, 0x1000, v5
	v_med3_i32 v9, v9, 0, 13
	v_lshrrev_b32_e32 v13, v9, v6
	v_lshlrev_b32_e32 v9, v9, v13
	v_cmp_ne_u32_e32 vcc, v9, v6
	v_cndmask_b32_e64 v6, 0, 1, vcc
	v_add_u32_e32 v7, 0xfffffc10, v7
	v_or_b32_e32 v6, v13, v6
	v_lshl_or_b32 v9, v7, 12, v5
	v_cmp_gt_i32_e32 vcc, 1, v7
	v_cndmask_b32_e32 v6, v9, v6, vcc
	v_and_b32_e32 v9, 7, v6
	v_cmp_lt_i32_e32 vcc, 5, v9
	v_cmp_eq_u32_e64 s[0:1], 3, v9
	v_lshrrev_b32_e32 v6, 2, v6
	s_or_b64 vcc, s[0:1], vcc
	v_addc_co_u32_e32 v6, vcc, 0, v6, vcc
	v_cmp_gt_i32_e32 vcc, 31, v7
	v_cndmask_b32_e32 v6, v2, v6, vcc
	v_cmp_ne_u32_e32 vcc, 0, v5
	v_cndmask_b32_e64 v5, 0, 1, vcc
	v_lshl_or_b32 v5, v5, 9, v2
	v_cmp_eq_u32_e32 vcc, s14, v7
	v_cndmask_b32_e32 v5, v6, v5, vcc
	v_lshrrev_b32_e32 v6, 16, v8
	v_and_or_b32 v5, v6, s15, v5
	v_and_b32_e32 v3, 0xffff, v3
	v_add_co_u32_e32 v0, vcc, s6, v0
	v_lshl_or_b32 v3, v5, 16, v3
	v_addc_co_u32_e32 v1, vcc, v1, v10, vcc
	global_store_dword v[0:1], v3, off
	global_load_dword v3, v[11:12], off offset:1692
	v_lshrrev_b32_e32 v7, 16, v4
	s_waitcnt vmcnt(0)
	v_mul_f16_sdwa v5, v7, v3 dst_sel:DWORD dst_unused:UNUSED_PAD src0_sel:DWORD src1_sel:WORD_1
	v_fma_f16 v5, v4, v3, v5
	v_cvt_f32_f16_e32 v5, v5
	v_mul_f16_sdwa v4, v4, v3 dst_sel:DWORD dst_unused:UNUSED_PAD src0_sel:DWORD src1_sel:WORD_1
	v_fma_f16 v3, v3, v7, -v4
	v_cvt_f32_f16_e32 v3, v3
	v_cvt_f64_f32_e32 v[5:6], v5
	v_cvt_f64_f32_e32 v[3:4], v3
	v_mul_f64 v[5:6], v[5:6], s[12:13]
	v_mul_f64 v[3:4], v[3:4], s[12:13]
	v_and_or_b32 v5, v6, s10, v5
	v_cmp_ne_u32_e32 vcc, 0, v5
	v_cndmask_b32_e64 v5, 0, 1, vcc
	v_lshrrev_b32_e32 v8, 8, v6
	v_bfe_u32 v9, v6, 20, 11
	v_and_or_b32 v5, v8, s11, v5
	v_sub_u32_e32 v13, 0x3f1, v9
	v_or_b32_e32 v8, 0x1000, v5
	v_med3_i32 v13, v13, 0, 13
	v_lshrrev_b32_e32 v14, v13, v8
	v_lshlrev_b32_e32 v13, v13, v14
	v_cmp_ne_u32_e32 vcc, v13, v8
	v_cndmask_b32_e64 v8, 0, 1, vcc
	v_add_u32_e32 v9, 0xfffffc10, v9
	v_or_b32_e32 v8, v14, v8
	v_lshl_or_b32 v13, v9, 12, v5
	v_cmp_gt_i32_e32 vcc, 1, v9
	v_cndmask_b32_e32 v8, v13, v8, vcc
	v_and_b32_e32 v13, 7, v8
	v_cmp_lt_i32_e32 vcc, 5, v13
	v_cmp_eq_u32_e64 s[0:1], 3, v13
	v_lshrrev_b32_e32 v7, 2, v8
	s_or_b64 vcc, s[0:1], vcc
	v_addc_co_u32_e32 v7, vcc, 0, v7, vcc
	v_cmp_gt_i32_e32 vcc, 31, v9
	v_cndmask_b32_e32 v7, v2, v7, vcc
	v_cmp_ne_u32_e32 vcc, 0, v5
	v_cndmask_b32_e64 v5, 0, 1, vcc
	v_lshl_or_b32 v5, v5, 9, v2
	v_cmp_eq_u32_e32 vcc, s14, v9
	v_and_or_b32 v3, v4, s10, v3
	v_cndmask_b32_e32 v5, v7, v5, vcc
	v_lshrrev_b32_e32 v6, 16, v6
	v_cmp_ne_u32_e32 vcc, 0, v3
	v_and_or_b32 v5, v6, s15, v5
	v_cndmask_b32_e64 v3, 0, 1, vcc
	v_lshrrev_b32_e32 v6, 8, v4
	v_bfe_u32 v7, v4, 20, 11
	v_and_or_b32 v3, v6, s11, v3
	v_sub_u32_e32 v8, 0x3f1, v7
	v_or_b32_e32 v6, 0x1000, v3
	v_med3_i32 v8, v8, 0, 13
	v_lshrrev_b32_e32 v9, v8, v6
	v_lshlrev_b32_e32 v8, v8, v9
	v_cmp_ne_u32_e32 vcc, v8, v6
	v_cndmask_b32_e64 v6, 0, 1, vcc
	v_add_u32_e32 v7, 0xfffffc10, v7
	v_or_b32_e32 v6, v9, v6
	v_lshl_or_b32 v8, v7, 12, v3
	v_cmp_gt_i32_e32 vcc, 1, v7
	v_cndmask_b32_e32 v6, v8, v6, vcc
	v_and_b32_e32 v8, 7, v6
	v_cmp_lt_i32_e32 vcc, 5, v8
	v_cmp_eq_u32_e64 s[0:1], 3, v8
	v_lshrrev_b32_e32 v6, 2, v6
	s_or_b64 vcc, s[0:1], vcc
	v_addc_co_u32_e32 v6, vcc, 0, v6, vcc
	v_cmp_gt_i32_e32 vcc, 31, v7
	v_cndmask_b32_e32 v6, v2, v6, vcc
	v_cmp_ne_u32_e32 vcc, 0, v3
	v_cndmask_b32_e64 v3, 0, 1, vcc
	v_lshl_or_b32 v3, v3, 9, v2
	v_cmp_eq_u32_e32 vcc, s14, v7
	v_cndmask_b32_e32 v3, v6, v3, vcc
	v_lshrrev_b32_e32 v4, 16, v4
	v_and_or_b32 v3, v4, s15, v3
	v_and_b32_e32 v4, 0xffff, v5
	v_add_co_u32_e32 v0, vcc, s6, v0
	v_lshl_or_b32 v3, v3, 16, v4
	v_addc_co_u32_e32 v1, vcc, v1, v10, vcc
	global_store_dword v[0:1], v3, off
	global_load_dword v5, v[11:12], off offset:1980
	ds_read_b32 v6, v26 offset:1980
	s_waitcnt lgkmcnt(0)
	v_lshrrev_b32_e32 v7, 16, v6
	s_waitcnt vmcnt(0)
	v_mul_f16_sdwa v3, v7, v5 dst_sel:DWORD dst_unused:UNUSED_PAD src0_sel:DWORD src1_sel:WORD_1
	v_fma_f16 v3, v6, v5, v3
	v_cvt_f32_f16_e32 v3, v3
	v_mul_f16_sdwa v6, v6, v5 dst_sel:DWORD dst_unused:UNUSED_PAD src0_sel:DWORD src1_sel:WORD_1
	v_fma_f16 v5, v5, v7, -v6
	v_cvt_f32_f16_e32 v5, v5
	v_cvt_f64_f32_e32 v[3:4], v3
	v_cvt_f64_f32_e32 v[5:6], v5
	v_mul_f64 v[3:4], v[3:4], s[12:13]
	v_mul_f64 v[5:6], v[5:6], s[12:13]
	v_and_or_b32 v3, v4, s10, v3
	v_cmp_ne_u32_e32 vcc, 0, v3
	v_cndmask_b32_e64 v3, 0, 1, vcc
	v_lshrrev_b32_e32 v8, 8, v4
	v_bfe_u32 v9, v4, 20, 11
	v_and_or_b32 v3, v8, s11, v3
	v_sub_u32_e32 v11, 0x3f1, v9
	v_or_b32_e32 v8, 0x1000, v3
	v_med3_i32 v11, v11, 0, 13
	v_lshrrev_b32_e32 v12, v11, v8
	v_lshlrev_b32_e32 v11, v11, v12
	v_cmp_ne_u32_e32 vcc, v11, v8
	v_cndmask_b32_e64 v8, 0, 1, vcc
	v_add_u32_e32 v9, 0xfffffc10, v9
	v_or_b32_e32 v8, v12, v8
	v_lshl_or_b32 v11, v9, 12, v3
	v_cmp_gt_i32_e32 vcc, 1, v9
	v_cndmask_b32_e32 v8, v11, v8, vcc
	v_and_b32_e32 v11, 7, v8
	v_cmp_lt_i32_e32 vcc, 5, v11
	v_cmp_eq_u32_e64 s[0:1], 3, v11
	v_lshrrev_b32_e32 v7, 2, v8
	s_or_b64 vcc, s[0:1], vcc
	v_addc_co_u32_e32 v7, vcc, 0, v7, vcc
	v_cmp_gt_i32_e32 vcc, 31, v9
	v_cndmask_b32_e32 v7, v2, v7, vcc
	v_cmp_ne_u32_e32 vcc, 0, v3
	v_cndmask_b32_e64 v3, 0, 1, vcc
	v_lshl_or_b32 v3, v3, 9, v2
	v_cmp_eq_u32_e32 vcc, s14, v9
	v_cndmask_b32_e32 v3, v7, v3, vcc
	v_lshrrev_b32_e32 v4, 16, v4
	v_and_or_b32 v3, v4, s15, v3
	v_and_or_b32 v4, v6, s10, v5
	v_cmp_ne_u32_e32 vcc, 0, v4
	v_cndmask_b32_e64 v4, 0, 1, vcc
	v_lshrrev_b32_e32 v5, 8, v6
	v_bfe_u32 v7, v6, 20, 11
	v_and_or_b32 v4, v5, s11, v4
	v_sub_u32_e32 v8, 0x3f1, v7
	v_or_b32_e32 v5, 0x1000, v4
	v_med3_i32 v8, v8, 0, 13
	v_lshrrev_b32_e32 v9, v8, v5
	v_lshlrev_b32_e32 v8, v8, v9
	v_cmp_ne_u32_e32 vcc, v8, v5
	v_cndmask_b32_e64 v5, 0, 1, vcc
	v_add_u32_e32 v7, 0xfffffc10, v7
	v_or_b32_e32 v5, v9, v5
	v_lshl_or_b32 v8, v7, 12, v4
	v_cmp_gt_i32_e32 vcc, 1, v7
	v_cndmask_b32_e32 v5, v8, v5, vcc
	v_and_b32_e32 v8, 7, v5
	v_cmp_lt_i32_e32 vcc, 5, v8
	v_cmp_eq_u32_e64 s[0:1], 3, v8
	v_lshrrev_b32_e32 v5, 2, v5
	s_or_b64 vcc, s[0:1], vcc
	v_addc_co_u32_e32 v5, vcc, 0, v5, vcc
	v_cmp_gt_i32_e32 vcc, 31, v7
	v_cndmask_b32_e32 v5, v2, v5, vcc
	v_cmp_ne_u32_e32 vcc, 0, v4
	v_cndmask_b32_e64 v4, 0, 1, vcc
	v_lshl_or_b32 v2, v4, 9, v2
	v_cmp_eq_u32_e32 vcc, s14, v7
	v_cndmask_b32_e32 v2, v5, v2, vcc
	v_lshrrev_b32_e32 v4, 16, v6
	v_and_or_b32 v2, v4, s15, v2
	v_and_b32_e32 v3, 0xffff, v3
	v_add_co_u32_e32 v0, vcc, s6, v0
	v_lshl_or_b32 v2, v2, 16, v3
	v_addc_co_u32_e32 v1, vcc, v1, v10, vcc
	global_store_dword v[0:1], v2, off
.LBB0_23:
	s_endpgm
	.section	.rodata,"a",@progbits
	.p2align	6, 0x0
	.amdhsa_kernel bluestein_single_back_len504_dim1_half_op_CI_CI
		.amdhsa_group_segment_fixed_size 2016
		.amdhsa_private_segment_fixed_size 0
		.amdhsa_kernarg_size 104
		.amdhsa_user_sgpr_count 6
		.amdhsa_user_sgpr_private_segment_buffer 1
		.amdhsa_user_sgpr_dispatch_ptr 0
		.amdhsa_user_sgpr_queue_ptr 0
		.amdhsa_user_sgpr_kernarg_segment_ptr 1
		.amdhsa_user_sgpr_dispatch_id 0
		.amdhsa_user_sgpr_flat_scratch_init 0
		.amdhsa_user_sgpr_private_segment_size 0
		.amdhsa_uses_dynamic_stack 0
		.amdhsa_system_sgpr_private_segment_wavefront_offset 0
		.amdhsa_system_sgpr_workgroup_id_x 1
		.amdhsa_system_sgpr_workgroup_id_y 0
		.amdhsa_system_sgpr_workgroup_id_z 0
		.amdhsa_system_sgpr_workgroup_info 0
		.amdhsa_system_vgpr_workitem_id 0
		.amdhsa_next_free_vgpr 62
		.amdhsa_next_free_sgpr 22
		.amdhsa_reserve_vcc 1
		.amdhsa_reserve_flat_scratch 0
		.amdhsa_float_round_mode_32 0
		.amdhsa_float_round_mode_16_64 0
		.amdhsa_float_denorm_mode_32 3
		.amdhsa_float_denorm_mode_16_64 3
		.amdhsa_dx10_clamp 1
		.amdhsa_ieee_mode 1
		.amdhsa_fp16_overflow 0
		.amdhsa_exception_fp_ieee_invalid_op 0
		.amdhsa_exception_fp_denorm_src 0
		.amdhsa_exception_fp_ieee_div_zero 0
		.amdhsa_exception_fp_ieee_overflow 0
		.amdhsa_exception_fp_ieee_underflow 0
		.amdhsa_exception_fp_ieee_inexact 0
		.amdhsa_exception_int_div_zero 0
	.end_amdhsa_kernel
	.text
.Lfunc_end0:
	.size	bluestein_single_back_len504_dim1_half_op_CI_CI, .Lfunc_end0-bluestein_single_back_len504_dim1_half_op_CI_CI
                                        ; -- End function
	.section	.AMDGPU.csdata,"",@progbits
; Kernel info:
; codeLenInByte = 17080
; NumSgprs: 26
; NumVgprs: 62
; ScratchSize: 0
; MemoryBound: 0
; FloatMode: 240
; IeeeMode: 1
; LDSByteSize: 2016 bytes/workgroup (compile time only)
; SGPRBlocks: 3
; VGPRBlocks: 15
; NumSGPRsForWavesPerEU: 26
; NumVGPRsForWavesPerEU: 62
; Occupancy: 4
; WaveLimiterHint : 1
; COMPUTE_PGM_RSRC2:SCRATCH_EN: 0
; COMPUTE_PGM_RSRC2:USER_SGPR: 6
; COMPUTE_PGM_RSRC2:TRAP_HANDLER: 0
; COMPUTE_PGM_RSRC2:TGID_X_EN: 1
; COMPUTE_PGM_RSRC2:TGID_Y_EN: 0
; COMPUTE_PGM_RSRC2:TGID_Z_EN: 0
; COMPUTE_PGM_RSRC2:TIDIG_COMP_CNT: 0
	.type	__hip_cuid_5728bbc55c4e25ce,@object ; @__hip_cuid_5728bbc55c4e25ce
	.section	.bss,"aw",@nobits
	.globl	__hip_cuid_5728bbc55c4e25ce
__hip_cuid_5728bbc55c4e25ce:
	.byte	0                               ; 0x0
	.size	__hip_cuid_5728bbc55c4e25ce, 1

	.ident	"AMD clang version 19.0.0git (https://github.com/RadeonOpenCompute/llvm-project roc-6.4.0 25133 c7fe45cf4b819c5991fe208aaa96edf142730f1d)"
	.section	".note.GNU-stack","",@progbits
	.addrsig
	.addrsig_sym __hip_cuid_5728bbc55c4e25ce
	.amdgpu_metadata
---
amdhsa.kernels:
  - .args:
      - .actual_access:  read_only
        .address_space:  global
        .offset:         0
        .size:           8
        .value_kind:     global_buffer
      - .actual_access:  read_only
        .address_space:  global
        .offset:         8
        .size:           8
        .value_kind:     global_buffer
      - .actual_access:  read_only
        .address_space:  global
        .offset:         16
        .size:           8
        .value_kind:     global_buffer
      - .actual_access:  read_only
        .address_space:  global
        .offset:         24
        .size:           8
        .value_kind:     global_buffer
      - .actual_access:  read_only
        .address_space:  global
        .offset:         32
        .size:           8
        .value_kind:     global_buffer
      - .offset:         40
        .size:           8
        .value_kind:     by_value
      - .address_space:  global
        .offset:         48
        .size:           8
        .value_kind:     global_buffer
      - .address_space:  global
        .offset:         56
        .size:           8
        .value_kind:     global_buffer
      - .address_space:  global
        .offset:         64
        .size:           8
        .value_kind:     global_buffer
      - .address_space:  global
        .offset:         72
        .size:           8
        .value_kind:     global_buffer
      - .offset:         80
        .size:           4
        .value_kind:     by_value
      - .address_space:  global
        .offset:         88
        .size:           8
        .value_kind:     global_buffer
      - .address_space:  global
        .offset:         96
        .size:           8
        .value_kind:     global_buffer
    .group_segment_fixed_size: 2016
    .kernarg_segment_align: 8
    .kernarg_segment_size: 104
    .language:       OpenCL C
    .language_version:
      - 2
      - 0
    .max_flat_workgroup_size: 63
    .name:           bluestein_single_back_len504_dim1_half_op_CI_CI
    .private_segment_fixed_size: 0
    .sgpr_count:     26
    .sgpr_spill_count: 0
    .symbol:         bluestein_single_back_len504_dim1_half_op_CI_CI.kd
    .uniform_work_group_size: 1
    .uses_dynamic_stack: false
    .vgpr_count:     62
    .vgpr_spill_count: 0
    .wavefront_size: 64
amdhsa.target:   amdgcn-amd-amdhsa--gfx906
amdhsa.version:
  - 1
  - 2
...

	.end_amdgpu_metadata
